;; amdgpu-corpus repo=ROCm/rocFFT kind=compiled arch=gfx1030 opt=O3
	.text
	.amdgcn_target "amdgcn-amd-amdhsa--gfx1030"
	.amdhsa_code_object_version 6
	.protected	bluestein_single_fwd_len672_dim1_dp_op_CI_CI ; -- Begin function bluestein_single_fwd_len672_dim1_dp_op_CI_CI
	.globl	bluestein_single_fwd_len672_dim1_dp_op_CI_CI
	.p2align	8
	.type	bluestein_single_fwd_len672_dim1_dp_op_CI_CI,@function
bluestein_single_fwd_len672_dim1_dp_op_CI_CI: ; @bluestein_single_fwd_len672_dim1_dp_op_CI_CI
; %bb.0:
	s_load_dwordx4 s[16:19], s[4:5], 0x28
	v_mul_u32_u24_e32 v1, 0x493, v0
	s_mov_b64 s[30:31], s[2:3]
	s_mov_b64 s[28:29], s[0:1]
	v_mov_b32_e32 v177, 0
	s_add_u32 s28, s28, s7
	v_lshrrev_b32_e32 v1, 16, v1
	s_addc_u32 s29, s29, 0
	s_mov_b32 s0, exec_lo
	v_add_nc_u32_e32 v176, s6, v1
	s_waitcnt lgkmcnt(0)
	v_cmpx_gt_u64_e64 s[16:17], v[176:177]
	s_cbranch_execz .LBB0_10
; %bb.1:
	s_clause 0x1
	s_load_dwordx4 s[0:3], s[4:5], 0x18
	s_load_dwordx4 s[12:15], s[4:5], 0x0
	v_mul_lo_u16 v1, v1, 56
	v_sub_nc_u16 v128, v0, v1
	v_and_b32_e32 v210, 0xffff, v128
	v_lshlrev_b32_e32 v209, 4, v210
	v_or_b32_e32 v18, 0x1c0, v210
	v_add_co_u32 v181, null, v210, 56
	s_waitcnt lgkmcnt(0)
	s_load_dwordx4 s[8:11], s[0:1], 0x0
	v_add_co_u32 v16, s0, s12, v209
	v_add_co_ci_u32_e64 v17, null, s13, 0, s0
	v_lshlrev_b32_e32 v214, 4, v18
	v_add_co_u32 v32, vcc_lo, 0x1000, v16
	v_add_co_ci_u32_e32 v33, vcc_lo, 0, v17, vcc_lo
	s_clause 0x2
	global_load_dwordx4 v[24:27], v209, s[12:13]
	global_load_dwordx4 v[4:7], v209, s[12:13] offset:896
	global_load_dwordx4 v[0:3], v209, s[12:13] offset:1792
	buffer_store_dword v18, off, s[28:31], 0 ; 4-byte Folded Spill
	v_lshlrev_b32_e32 v213, 5, v210
	global_load_dwordx4 v[44:47], v[32:33], off offset:1280
	v_and_b32_e32 v148, 15, v181
	v_and_b32_e32 v171, 31, v210
	;; [unrolled: 1-line block ×3, first 2 shown]
	v_lshrrev_b32_e32 v173, 5, v210
	s_waitcnt lgkmcnt(0)
	v_mad_u64_u32 v[8:9], null, s10, v176, 0
	v_mad_u64_u32 v[10:11], null, s8, v210, 0
	s_mul_i32 s1, s9, 0x1500
	s_mul_hi_u32 s6, s8, 0x1500
	s_mul_i32 s0, s8, 0x1500
	s_add_i32 s1, s6, s1
	s_mul_hi_u32 s10, s8, 0xffffee80
	s_mul_i32 s7, s9, 0xffffee80
	v_mad_u64_u32 v[12:13], null, s11, v176, v[9:10]
	s_mul_i32 s11, s8, 0xffffee80
	s_sub_i32 s6, s10, s8
	v_mul_u32_u24_e32 v173, 0x60, v173
	s_add_i32 s6, s6, s7
	v_mad_u64_u32 v[13:14], null, s9, v210, v[11:12]
	v_mov_b32_e32 v9, v12
	v_or_b32_e32 v203, v173, v171
	v_lshlrev_b64 v[8:9], 4, v[8:9]
	v_mov_b32_e32 v11, v13
	v_mad_u64_u32 v[12:13], null, s8, v18, 0
	v_lshlrev_b32_e32 v242, 4, v203
	v_lshlrev_b64 v[10:11], 4, v[10:11]
	v_add_co_u32 v51, vcc_lo, s18, v8
	v_add_co_ci_u32_e32 v52, vcc_lo, s19, v9, vcc_lo
	v_add_co_u32 v34, vcc_lo, v51, v10
	v_add_co_ci_u32_e32 v35, vcc_lo, v52, v11, vcc_lo
	v_mov_b32_e32 v10, v13
	v_add_co_u32 v36, vcc_lo, v34, s0
	v_add_co_ci_u32_e32 v37, vcc_lo, s1, v35, vcc_lo
	v_mad_u64_u32 v[10:11], null, s9, v18, v[10:11]
	v_add_co_u32 v38, vcc_lo, v36, s11
	v_add_co_ci_u32_e32 v39, vcc_lo, s6, v37, vcc_lo
	v_add_co_u32 v8, vcc_lo, 0x1800, v16
	v_add_co_ci_u32_e32 v9, vcc_lo, 0, v17, vcc_lo
	;; [unrolled: 2-line block ×3, first 2 shown]
	v_mov_b32_e32 v13, v10
	v_add_co_u32 v64, vcc_lo, v60, s11
	v_add_co_ci_u32_e32 v65, vcc_lo, s6, v61, vcc_lo
	v_lshlrev_b64 v[49:50], 4, v[12:13]
	v_add_co_u32 v14, vcc_lo, 0x800, v16
	v_mad_u64_u32 v[72:73], null, 0x380, s8, v[64:65]
	v_add_co_ci_u32_e32 v15, vcc_lo, 0, v17, vcc_lo
	v_add_co_u32 v92, vcc_lo, 0x2000, v16
	v_add_co_ci_u32_e32 v93, vcc_lo, 0, v17, vcc_lo
	v_mov_b32_e32 v48, v73
	v_add_co_u32 v68, vcc_lo, v51, v49
	s_clause 0x3
	global_load_dwordx4 v[28:31], v214, s[12:13]
	global_load_dwordx4 v[16:19], v[14:15], off offset:640
	global_load_dwordx4 v[40:43], v[8:9], off offset:128
	;; [unrolled: 1-line block ×3, first 2 shown]
	v_mad_u64_u32 v[56:57], null, 0x380, s9, v[48:49]
	s_clause 0x1
	global_load_dwordx4 v[8:11], v[14:15], off offset:1536
	global_load_dwordx4 v[12:15], v[92:93], off offset:768
	v_add_co_ci_u32_e32 v69, vcc_lo, v52, v50, vcc_lo
	s_clause 0x1
	global_load_dwordx4 v[48:51], v[34:35], off
	global_load_dwordx4 v[52:55], v[36:37], off
	v_add_co_u32 v34, vcc_lo, v72, s0
	v_mov_b32_e32 v73, v56
	s_clause 0x3
	global_load_dwordx4 v[56:59], v[38:39], off
	global_load_dwordx4 v[60:63], v[60:61], off
	;; [unrolled: 1-line block ×4, first 2 shown]
	v_add_co_ci_u32_e32 v35, vcc_lo, s1, v73, vcc_lo
	v_add_co_u32 v36, vcc_lo, v34, s11
	global_load_dwordx4 v[72:75], v[72:73], off
	v_add_co_ci_u32_e32 v37, vcc_lo, s6, v35, vcc_lo
	v_add_co_u32 v38, vcc_lo, v36, s0
	global_load_dwordx4 v[76:79], v[34:35], off
	v_add_co_ci_u32_e32 v39, vcc_lo, s1, v37, vcc_lo
	v_add_co_u32 v88, vcc_lo, v38, s11
	global_load_dwordx4 v[80:83], v[36:37], off
	v_add_co_ci_u32_e32 v89, vcc_lo, s6, v39, vcc_lo
	v_add_co_u32 v94, vcc_lo, v88, s0
	v_add_co_ci_u32_e32 v95, vcc_lo, s1, v89, vcc_lo
	global_load_dwordx4 v[84:87], v[38:39], off
	global_load_dwordx4 v[32:35], v[32:33], off offset:384
	global_load_dwordx4 v[88:91], v[88:89], off
	global_load_dwordx4 v[36:39], v[92:93], off offset:1664
	global_load_dwordx4 v[92:95], v[94:95], off
	s_load_dwordx4 s[8:11], s[2:3], 0x0
	s_mov_b32 s0, 0xe8584caa
	s_mov_b32 s1, 0x3febb67a
	;; [unrolled: 1-line block ×4, first 2 shown]
	v_cmp_gt_u16_e32 vcc_lo, 40, v128
	s_waitcnt vmcnt(13)
	v_mul_f64 v[96:97], v[50:51], v[26:27]
	v_mul_f64 v[98:99], v[48:49], v[26:27]
	s_waitcnt vmcnt(12)
	v_mul_f64 v[100:101], v[54:55], v[46:47]
	v_mul_f64 v[102:103], v[52:53], v[46:47]
	;; [unrolled: 3-line block ×7, first 2 shown]
	v_fma_f64 v[48:49], v[48:49], v[24:25], v[96:97]
	v_fma_f64 v[50:51], v[50:51], v[24:25], -v[98:99]
	v_mul_f64 v[96:97], v[74:75], v[18:19]
	v_mul_f64 v[98:99], v[72:73], v[18:19]
	s_waitcnt vmcnt(5)
	v_mul_f64 v[124:125], v[82:83], v[10:11]
	v_mul_f64 v[126:127], v[80:81], v[10:11]
	s_waitcnt vmcnt(4)
	;; [unrolled: 3-line block ×4, first 2 shown]
	v_mul_f64 v[137:138], v[94:95], v[38:39]
	v_mul_f64 v[139:140], v[92:93], v[38:39]
	v_fma_f64 v[52:53], v[52:53], v[44:45], v[100:101]
	v_fma_f64 v[54:55], v[54:55], v[44:45], -v[102:103]
	v_fma_f64 v[56:57], v[56:57], v[4:5], v[104:105]
	v_fma_f64 v[58:59], v[58:59], v[4:5], -v[106:107]
	;; [unrolled: 2-line block ×11, first 2 shown]
	ds_write_b128 v209, v[48:51]
	ds_write_b128 v209, v[52:55] offset:5376
	ds_write_b128 v209, v[56:59] offset:896
	;; [unrolled: 1-line block ×11, first 2 shown]
	s_waitcnt lgkmcnt(0)
	s_waitcnt_vscnt null, 0x0
	s_barrier
	buffer_gl0_inv
	ds_read_b128 v[48:51], v209 offset:5376
	ds_read_b128 v[52:55], v209
	ds_read_b128 v[56:59], v209 offset:896
	ds_read_b128 v[60:63], v209 offset:6272
	;; [unrolled: 1-line block ×10, first 2 shown]
	v_lshlrev_b32_e32 v72, 1, v210
	v_add_nc_u32_e32 v105, 0x70, v210
	v_add_nc_u32_e32 v104, 0xa8, v210
	v_and_b32_e32 v122, 1, v210
	v_lshlrev_b32_e32 v101, 5, v181
	s_waitcnt lgkmcnt(0)
	s_barrier
	buffer_gl0_inv
	v_and_b32_e32 v135, 7, v210
	v_add_f64 v[48:49], v[52:53], -v[48:49]
	v_add_f64 v[50:51], v[54:55], -v[50:51]
	;; [unrolled: 1-line block ×12, first 2 shown]
	v_add_nc_u32_e32 v60, 0x118, v210
	v_and_b32_e32 v147, 15, v104
	v_and_b32_e32 v175, 31, v105
	;; [unrolled: 1-line block ×3, first 2 shown]
	v_fma_f64 v[52:53], v[52:53], 2.0, -v[48:49]
	v_fma_f64 v[54:55], v[54:55], 2.0, -v[50:51]
	v_fma_f64 v[56:57], v[56:57], 2.0, -v[97:98]
	v_fma_f64 v[58:59], v[58:59], 2.0, -v[99:100]
	v_fma_f64 v[65:66], v[68:69], 2.0, -v[61:62]
	v_fma_f64 v[67:68], v[70:71], 2.0, -v[63:64]
	v_fma_f64 v[106:107], v[73:74], 2.0, -v[77:78]
	v_fma_f64 v[108:109], v[75:76], 2.0, -v[79:80]
	v_fma_f64 v[85:86], v[85:86], 2.0, -v[81:82]
	v_fma_f64 v[87:88], v[87:88], 2.0, -v[83:84]
	v_fma_f64 v[89:90], v[89:90], 2.0, -v[93:94]
	v_fma_f64 v[91:92], v[91:92], 2.0, -v[95:96]
	v_add_nc_u32_e32 v73, 0x1c0, v72
	v_lshlrev_b32_e32 v76, 5, v105
	v_lshlrev_b32_e32 v75, 5, v104
	;; [unrolled: 1-line block ×6, first 2 shown]
	ds_write_b128 v213, v[48:51] offset:16
	ds_write_b128 v213, v[52:55]
	ds_write_b128 v101, v[56:59]
	buffer_store_dword v101, off, s[28:31], 0 offset:52 ; 4-byte Folded Spill
	ds_write_b128 v101, v[97:100] offset:16
	ds_write_b128 v213, v[65:68] offset:3584
	buffer_store_dword v76, off, s[28:31], 0 offset:40 ; 4-byte Folded Spill
	ds_write_b128 v76, v[61:64] offset:16
	ds_write_b128 v213, v[106:109] offset:5376
	;; [unrolled: 3-line block ×4, first 2 shown]
	buffer_store_dword v71, off, s[28:31], 0 offset:4 ; 4-byte Folded Spill
	ds_write_b128 v71, v[93:96] offset:16
	s_waitcnt lgkmcnt(0)
	s_waitcnt_vscnt null, 0x0
	s_barrier
	buffer_gl0_inv
	global_load_dwordx4 v[48:51], v70, s[14:15]
	ds_read_b128 v[52:55], v209 offset:5376
	ds_read_b128 v[56:59], v209 offset:6272
	;; [unrolled: 1-line block ×6, first 2 shown]
	ds_read_b128 v[82:85], v209
	ds_read_b128 v[86:89], v209 offset:896
	ds_read_b128 v[90:93], v209 offset:1792
	;; [unrolled: 1-line block ×3, first 2 shown]
	v_and_b32_e32 v71, 3, v210
	s_waitcnt vmcnt(0) lgkmcnt(9)
	v_mul_f64 v[69:70], v[54:55], v[50:51]
	v_mul_f64 v[98:99], v[52:53], v[50:51]
	s_waitcnt lgkmcnt(8)
	v_mul_f64 v[100:101], v[58:59], v[50:51]
	v_mul_f64 v[102:103], v[56:57], v[50:51]
	s_waitcnt lgkmcnt(7)
	;; [unrolled: 3-line block ×5, first 2 shown]
	v_mul_f64 v[118:119], v[80:81], v[50:51]
	v_mul_f64 v[120:121], v[78:79], v[50:51]
	v_fma_f64 v[69:70], v[52:53], v[48:49], -v[69:70]
	v_fma_f64 v[98:99], v[54:55], v[48:49], v[98:99]
	v_fma_f64 v[100:101], v[56:57], v[48:49], -v[100:101]
	v_fma_f64 v[102:103], v[58:59], v[48:49], v[102:103]
	;; [unrolled: 2-line block ×6, first 2 shown]
	ds_read_b128 v[52:55], v209 offset:3584
	ds_read_b128 v[56:59], v209 offset:4480
	s_waitcnt lgkmcnt(0)
	s_barrier
	buffer_gl0_inv
	v_add_f64 v[61:62], v[82:83], -v[69:70]
	v_add_f64 v[63:64], v[84:85], -v[98:99]
	;; [unrolled: 1-line block ×8, first 2 shown]
	v_and_or_b32 v69, 0x7c, v72, v122
	v_lshlrev_b32_e32 v70, 4, v71
	v_add_f64 v[106:107], v[52:53], -v[74:75]
	v_add_f64 v[108:109], v[54:55], -v[76:77]
	;; [unrolled: 1-line block ×4, first 2 shown]
	v_lshlrev_b32_e32 v75, 1, v181
	v_lshlrev_b32_e32 v76, 1, v105
	;; [unrolled: 1-line block ×5, first 2 shown]
	v_and_or_b32 v69, 0xfc, v75, v122
	v_and_or_b32 v102, 0x1fc, v76, v122
	;; [unrolled: 1-line block ×3, first 2 shown]
	v_fma_f64 v[82:83], v[82:83], 2.0, -v[61:62]
	v_fma_f64 v[84:85], v[84:85], 2.0, -v[63:64]
	;; [unrolled: 1-line block ×8, first 2 shown]
	v_and_or_b32 v114, 0x3fc, v73, v122
	v_and_or_b32 v115, 0x2fc, v74, v122
	v_fma_f64 v[52:53], v[52:53], 2.0, -v[106:107]
	v_fma_f64 v[54:55], v[54:55], 2.0, -v[108:109]
	;; [unrolled: 1-line block ×4, first 2 shown]
	v_lshlrev_b32_e32 v118, 4, v69
	v_lshlrev_b32_e32 v116, 4, v102
	;; [unrolled: 1-line block ×5, first 2 shown]
	ds_write_b128 v117, v[61:64] offset:32
	buffer_store_dword v117, off, s[28:31], 0 offset:56 ; 4-byte Folded Spill
	ds_write_b128 v117, v[82:85]
	ds_write_b128 v118, v[86:89]
	buffer_store_dword v118, off, s[28:31], 0 offset:64 ; 4-byte Folded Spill
	ds_write_b128 v118, v[65:68] offset:32
	ds_write_b128 v116, v[90:93]
	buffer_store_dword v116, off, s[28:31], 0 offset:44 ; 4-byte Folded Spill
	ds_write_b128 v116, v[78:81] offset:32
	;; [unrolled: 3-line block ×5, first 2 shown]
	s_waitcnt lgkmcnt(0)
	s_waitcnt_vscnt null, 0x0
	s_barrier
	buffer_gl0_inv
	global_load_dwordx4 v[52:55], v70, s[14:15] offset:32
	ds_read_b128 v[56:59], v209 offset:5376
	ds_read_b128 v[61:64], v209 offset:6272
	;; [unrolled: 1-line block ×6, first 2 shown]
	ds_read_b128 v[90:93], v209
	ds_read_b128 v[94:97], v209 offset:896
	ds_read_b128 v[98:101], v209 offset:1792
	ds_read_b128 v[106:109], v209 offset:2688
	s_waitcnt vmcnt(0) lgkmcnt(9)
	v_mul_f64 v[69:70], v[58:59], v[54:55]
	v_mul_f64 v[102:103], v[56:57], v[54:55]
	s_waitcnt lgkmcnt(8)
	v_mul_f64 v[110:111], v[63:64], v[54:55]
	v_mul_f64 v[112:113], v[61:62], v[54:55]
	s_waitcnt lgkmcnt(7)
	;; [unrolled: 3-line block ×5, first 2 shown]
	v_mul_f64 v[126:127], v[88:89], v[54:55]
	v_mul_f64 v[129:130], v[86:87], v[54:55]
	v_fma_f64 v[69:70], v[56:57], v[52:53], -v[69:70]
	v_fma_f64 v[102:103], v[58:59], v[52:53], v[102:103]
	v_fma_f64 v[110:111], v[61:62], v[52:53], -v[110:111]
	v_fma_f64 v[112:113], v[63:64], v[52:53], v[112:113]
	;; [unrolled: 2-line block ×6, first 2 shown]
	ds_read_b128 v[56:59], v209 offset:3584
	ds_read_b128 v[61:64], v209 offset:4480
	s_waitcnt lgkmcnt(0)
	s_barrier
	buffer_gl0_inv
	v_add_f64 v[65:66], v[90:91], -v[69:70]
	v_add_f64 v[67:68], v[92:93], -v[102:103]
	;; [unrolled: 1-line block ×8, first 2 shown]
	v_and_or_b32 v69, 0x78, v72, v71
	v_and_or_b32 v102, 0x1f8, v76, v71
	v_add_f64 v[110:111], v[56:57], -v[122:123]
	v_add_f64 v[112:113], v[58:59], -v[124:125]
	;; [unrolled: 1-line block ×4, first 2 shown]
	v_lshlrev_b32_e32 v120, 4, v69
	v_and_or_b32 v69, 0xf8, v75, v71
	v_and_or_b32 v103, 0x1f8, v77, v71
	;; [unrolled: 1-line block ×4, first 2 shown]
	v_lshlrev_b32_e32 v70, 4, v135
	v_lshlrev_b32_e32 v121, 4, v69
	;; [unrolled: 1-line block ×3, first 2 shown]
	v_fma_f64 v[90:91], v[90:91], 2.0, -v[65:66]
	v_fma_f64 v[92:93], v[92:93], 2.0, -v[67:68]
	;; [unrolled: 1-line block ×8, first 2 shown]
	v_lshlrev_b32_e32 v103, 4, v103
	v_lshlrev_b32_e32 v102, 4, v118
	v_fma_f64 v[56:57], v[56:57], 2.0, -v[110:111]
	v_fma_f64 v[58:59], v[58:59], 2.0, -v[112:113]
	;; [unrolled: 1-line block ×4, first 2 shown]
	v_lshlrev_b32_e32 v69, 4, v71
	ds_write_b128 v120, v[65:68] offset:64
	buffer_store_dword v120, off, s[28:31], 0 offset:60 ; 4-byte Folded Spill
	ds_write_b128 v120, v[90:93]
	ds_write_b128 v121, v[94:97]
	buffer_store_dword v121, off, s[28:31], 0 offset:72 ; 4-byte Folded Spill
	ds_write_b128 v121, v[78:81] offset:64
	ds_write_b128 v119, v[98:101]
	buffer_store_dword v119, off, s[28:31], 0 offset:48 ; 4-byte Folded Spill
	ds_write_b128 v119, v[82:85] offset:64
	;; [unrolled: 3-line block ×5, first 2 shown]
	s_waitcnt lgkmcnt(0)
	s_waitcnt_vscnt null, 0x0
	s_barrier
	buffer_gl0_inv
	global_load_dwordx4 v[56:59], v70, s[14:15] offset:96
	ds_read_b128 v[61:64], v209 offset:5376
	ds_read_b128 v[65:68], v209 offset:6272
	;; [unrolled: 1-line block ×6, first 2 shown]
	ds_read_b128 v[94:97], v209
	ds_read_b128 v[98:101], v209 offset:896
	ds_read_b128 v[106:109], v209 offset:1792
	;; [unrolled: 1-line block ×3, first 2 shown]
	v_and_or_b32 v71, 0x1f0, v76, v135
	s_waitcnt vmcnt(0) lgkmcnt(9)
	v_mul_f64 v[69:70], v[63:64], v[58:59]
	v_mul_f64 v[102:103], v[61:62], v[58:59]
	s_waitcnt lgkmcnt(8)
	v_mul_f64 v[114:115], v[67:68], v[58:59]
	v_mul_f64 v[116:117], v[65:66], v[58:59]
	s_waitcnt lgkmcnt(7)
	;; [unrolled: 3-line block ×5, first 2 shown]
	v_mul_f64 v[131:132], v[92:93], v[58:59]
	v_mul_f64 v[133:134], v[90:91], v[58:59]
	v_fma_f64 v[69:70], v[61:62], v[56:57], -v[69:70]
	v_fma_f64 v[102:103], v[63:64], v[56:57], v[102:103]
	v_fma_f64 v[114:115], v[65:66], v[56:57], -v[114:115]
	v_fma_f64 v[116:117], v[67:68], v[56:57], v[116:117]
	;; [unrolled: 2-line block ×6, first 2 shown]
	ds_read_b128 v[61:64], v209 offset:3584
	ds_read_b128 v[65:68], v209 offset:4480
	v_and_b32_e32 v79, 15, v60
	v_and_b32_e32 v78, 15, v210
	s_waitcnt lgkmcnt(0)
	s_barrier
	buffer_gl0_inv
	v_add_f64 v[80:81], v[94:95], -v[69:70]
	v_add_f64 v[82:83], v[96:97], -v[102:103]
	v_add_f64 v[84:85], v[98:99], -v[114:115]
	v_add_f64 v[86:87], v[100:101], -v[116:117]
	v_add_f64 v[88:89], v[106:107], -v[118:119]
	v_add_f64 v[90:91], v[108:109], -v[120:121]
	v_add_f64 v[114:115], v[110:111], -v[122:123]
	v_add_f64 v[116:117], v[112:113], -v[124:125]
	v_and_or_b32 v69, 0x70, v72, v135
	v_lshlrev_b32_e32 v70, 4, v78
	v_add_f64 v[118:119], v[61:62], -v[126:127]
	v_add_f64 v[120:121], v[63:64], -v[129:130]
	;; [unrolled: 1-line block ×4, first 2 shown]
	v_lshlrev_b32_e32 v127, 4, v69
	v_and_or_b32 v69, 0xf0, v75, v135
	v_and_or_b32 v126, 0x1f0, v77, v135
	;; [unrolled: 1-line block ×3, first 2 shown]
	buffer_store_dword v127, off, s[28:31], 0 offset:88 ; 4-byte Folded Spill
	v_fma_f64 v[92:93], v[94:95], 2.0, -v[80:81]
	v_fma_f64 v[94:95], v[96:97], 2.0, -v[82:83]
	v_fma_f64 v[96:97], v[98:99], 2.0, -v[84:85]
	v_fma_f64 v[98:99], v[100:101], 2.0, -v[86:87]
	v_fma_f64 v[100:101], v[106:107], 2.0, -v[88:89]
	v_fma_f64 v[102:103], v[108:109], 2.0, -v[90:91]
	v_fma_f64 v[106:107], v[110:111], 2.0, -v[114:115]
	v_fma_f64 v[108:109], v[112:113], 2.0, -v[116:117]
	v_and_or_b32 v110, 0x2f0, v74, v135
	v_lshlrev_b32_e32 v113, 4, v69
	v_fma_f64 v[60:61], v[61:62], 2.0, -v[118:119]
	v_fma_f64 v[62:63], v[63:64], 2.0, -v[120:121]
	;; [unrolled: 1-line block ×4, first 2 shown]
	v_and_or_b32 v68, 0x3f0, v73, v135
	v_lshlrev_b32_e32 v112, 4, v71
	v_lshlrev_b32_e32 v71, 4, v126
	;; [unrolled: 1-line block ×3, first 2 shown]
	ds_write_b128 v127, v[80:83] offset:128
	v_lshlrev_b32_e32 v69, 4, v68
	v_lshlrev_b32_e32 v68, 4, v110
	ds_write_b128 v127, v[92:95]
	ds_write_b128 v113, v[96:99]
	buffer_store_dword v113, off, s[28:31], 0 offset:92 ; 4-byte Folded Spill
	ds_write_b128 v113, v[84:87] offset:128
	ds_write_b128 v112, v[100:103]
	buffer_store_dword v112, off, s[28:31], 0 offset:84 ; 4-byte Folded Spill
	ds_write_b128 v112, v[88:91] offset:128
	;; [unrolled: 3-line block ×5, first 2 shown]
	v_lshlrev_b32_e32 v68, 4, v147
	s_waitcnt lgkmcnt(0)
	s_waitcnt_vscnt null, 0x0
	s_barrier
	buffer_gl0_inv
	s_clause 0x3
	global_load_dwordx4 v[64:67], v70, s[14:15] offset:224
	global_load_dwordx4 v[60:63], v111, s[14:15] offset:224
	;; [unrolled: 1-line block ×3, first 2 shown]
	global_load_dwordx2 v[179:180], v111, s[14:15] offset:232
	v_lshlrev_b32_e32 v80, 4, v148
	v_lshlrev_b32_e32 v245, 4, v72
	v_and_or_b32 v72, 0xe0, v75, v148
	v_and_or_b32 v74, 0x2e0, v74, v79
	;; [unrolled: 1-line block ×3, first 2 shown]
	global_load_dwordx2 v[177:178], v80, s[14:15] offset:224
	ds_read_b128 v[80:83], v209 offset:5376
	ds_read_b128 v[84:87], v209 offset:6272
	;; [unrolled: 1-line block ×6, first 2 shown]
	ds_read_b128 v[106:109], v209
	ds_read_b128 v[110:113], v209 offset:896
	ds_read_b128 v[114:117], v209 offset:1792
	;; [unrolled: 1-line block ×3, first 2 shown]
	v_and_or_b32 v76, 0x1e0, v77, v147
	v_and_or_b32 v73, 0x3e0, v73, v78
	v_lshlrev_b32_e32 v246, 4, v72
	v_lshlrev_b32_e32 v72, 4, v74
	;; [unrolled: 1-line block ×7, first 2 shown]
	s_waitcnt vmcnt(3) lgkmcnt(8)
	v_mul_f64 v[126:127], v[86:87], v[62:63]
	v_mul_f64 v[122:123], v[82:83], v[66:67]
	;; [unrolled: 1-line block ×4, first 2 shown]
	s_waitcnt lgkmcnt(7)
	v_mul_f64 v[131:132], v[90:91], v[66:67]
	v_mul_f64 v[133:134], v[88:89], v[66:67]
	s_waitcnt vmcnt(2) lgkmcnt(6)
	v_mul_f64 v[135:136], v[94:95], v[70:71]
	v_mul_f64 v[137:138], v[92:93], v[70:71]
	s_waitcnt lgkmcnt(5)
	v_mul_f64 v[139:140], v[98:99], v[66:67]
	v_mul_f64 v[141:142], v[96:97], v[66:67]
	s_waitcnt vmcnt(1) lgkmcnt(4)
	v_mul_f64 v[143:144], v[102:103], v[179:180]
	v_mul_f64 v[145:146], v[100:101], v[179:180]
	s_waitcnt vmcnt(0)
	v_fma_f64 v[126:127], v[84:85], v[177:178], -v[126:127]
	v_fma_f64 v[122:123], v[80:81], v[64:65], -v[122:123]
	v_fma_f64 v[124:125], v[82:83], v[64:65], v[124:125]
	v_fma_f64 v[129:130], v[86:87], v[177:178], v[129:130]
	v_fma_f64 v[131:132], v[88:89], v[64:65], -v[131:132]
	v_fma_f64 v[133:134], v[90:91], v[64:65], v[133:134]
	v_fma_f64 v[135:136], v[92:93], v[68:69], -v[135:136]
	;; [unrolled: 2-line block ×4, first 2 shown]
	ds_read_b128 v[80:83], v209 offset:3584
	ds_read_b128 v[84:87], v209 offset:4480
	v_fma_f64 v[145:146], v[102:103], v[60:61], v[145:146]
	s_waitcnt lgkmcnt(0)
	s_barrier
	buffer_gl0_inv
	v_add_f64 v[92:93], v[110:111], -v[126:127]
	v_add_f64 v[88:89], v[106:107], -v[122:123]
	;; [unrolled: 1-line block ×8, first 2 shown]
	v_lshlrev_b32_e32 v126, 5, v171
	v_add_f64 v[122:123], v[80:81], -v[139:140]
	v_add_f64 v[124:125], v[82:83], -v[141:142]
	;; [unrolled: 1-line block ×4, first 2 shown]
	v_fma_f64 v[110:111], v[110:111], 2.0, -v[92:93]
	v_fma_f64 v[106:107], v[106:107], 2.0, -v[88:89]
	;; [unrolled: 1-line block ×12, first 2 shown]
	ds_write_b128 v245, v[88:91] offset:256
	ds_write_b128 v245, v[106:109]
	ds_write_b128 v246, v[110:113]
	ds_write_b128 v246, v[92:95] offset:256
	ds_write_b128 v239, v[114:117]
	ds_write_b128 v239, v[96:99] offset:256
	;; [unrolled: 2-line block ×4, first 2 shown]
	ds_write_b128 v72, v[84:87]
	buffer_store_dword v72, off, s[28:31], 0 offset:96 ; 4-byte Folded Spill
	ds_write_b128 v72, v[129:132] offset:256
	s_waitcnt lgkmcnt(0)
	s_waitcnt_vscnt null, 0x0
	s_barrier
	buffer_gl0_inv
	s_clause 0x1
	global_load_dwordx4 v[80:83], v126, s[14:15] offset:480
	global_load_dwordx4 v[100:103], v126, s[14:15] offset:496
	v_lshlrev_b32_e32 v72, 5, v175
	s_clause 0x5
	global_load_dwordx4 v[96:99], v77, s[14:15] offset:480
	global_load_dwordx4 v[92:95], v77, s[14:15] offset:496
	;; [unrolled: 1-line block ×6, first 2 shown]
	ds_read_b128 v[106:109], v209 offset:3584
	ds_read_b128 v[110:113], v209 offset:7168
	;; [unrolled: 1-line block ×8, first 2 shown]
	s_waitcnt vmcnt(7) lgkmcnt(7)
	v_mul_f64 v[126:127], v[108:109], v[82:83]
	v_mul_f64 v[141:142], v[106:107], v[82:83]
	s_waitcnt vmcnt(6) lgkmcnt(6)
	v_mul_f64 v[143:144], v[112:113], v[102:103]
	v_mul_f64 v[145:146], v[110:111], v[102:103]
	s_waitcnt vmcnt(5) lgkmcnt(5)
	v_mul_f64 v[147:148], v[116:117], v[98:99]
	v_mul_f64 v[149:150], v[114:115], v[98:99]
	s_waitcnt vmcnt(4) lgkmcnt(4)
	v_mul_f64 v[151:152], v[120:121], v[94:95]
	v_mul_f64 v[153:154], v[118:119], v[94:95]
	s_waitcnt vmcnt(3) lgkmcnt(3)
	v_mul_f64 v[155:156], v[124:125], v[90:91]
	v_mul_f64 v[157:158], v[122:123], v[90:91]
	s_waitcnt vmcnt(2) lgkmcnt(2)
	v_mul_f64 v[159:160], v[131:132], v[86:87]
	v_mul_f64 v[161:162], v[129:130], v[86:87]
	s_waitcnt vmcnt(1) lgkmcnt(1)
	v_mul_f64 v[163:164], v[135:136], v[78:79]
	s_waitcnt vmcnt(0) lgkmcnt(0)
	v_mul_f64 v[165:166], v[139:140], v[74:75]
	v_mul_f64 v[167:168], v[133:134], v[78:79]
	;; [unrolled: 1-line block ×3, first 2 shown]
	v_fma_f64 v[126:127], v[106:107], v[80:81], -v[126:127]
	v_fma_f64 v[141:142], v[108:109], v[80:81], v[141:142]
	v_fma_f64 v[143:144], v[110:111], v[100:101], -v[143:144]
	v_fma_f64 v[145:146], v[112:113], v[100:101], v[145:146]
	;; [unrolled: 2-line block ×6, first 2 shown]
	v_fma_f64 v[133:134], v[133:134], v[76:77], -v[163:164]
	v_fma_f64 v[137:138], v[137:138], v[72:73], -v[165:166]
	v_fma_f64 v[135:136], v[135:136], v[76:77], v[167:168]
	v_fma_f64 v[139:140], v[139:140], v[72:73], v[169:170]
	ds_read_b128 v[106:109], v209
	ds_read_b128 v[110:113], v209 offset:896
	v_lshrrev_b32_e32 v155, 5, v181
	v_lshrrev_b32_e32 v157, 5, v105
	v_lshrrev_b32_e32 v159, 5, v104
	ds_read_b128 v[114:117], v209 offset:1792
	ds_read_b128 v[118:121], v209 offset:2688
	s_waitcnt lgkmcnt(0)
	v_mul_u32_u24_e32 v161, 0x60, v155
	v_add_f64 v[104:105], v[126:127], v[143:144]
	v_add_f64 v[155:156], v[141:142], v[145:146]
	v_mul_u32_u24_e32 v204, 0x60, v157
	v_mul_u32_u24_e32 v205, 0x60, v159
	v_add_f64 v[157:158], v[147:148], v[151:152]
	v_add_f64 v[159:160], v[149:150], v[153:154]
	v_or_b32_e32 v206, v161, v172
	v_add_f64 v[173:174], v[126:127], -v[143:144]
	v_add_f64 v[161:162], v[122:123], v[129:130]
	v_add_f64 v[165:166], v[124:125], v[131:132]
	v_add_f64 v[194:195], v[124:125], -v[131:132]
	v_add_f64 v[169:170], v[133:134], v[137:138]
	v_add_f64 v[163:164], v[108:109], v[141:142]
	;; [unrolled: 1-line block ×4, first 2 shown]
	v_add_f64 v[141:142], v[141:142], -v[145:146]
	v_add_f64 v[126:127], v[112:113], v[149:150]
	v_add_f64 v[184:185], v[116:117], v[124:125]
	;; [unrolled: 1-line block ×4, first 2 shown]
	v_add_f64 v[149:150], v[149:150], -v[153:154]
	v_add_f64 v[147:148], v[147:148], -v[151:152]
	v_fma_f64 v[192:193], v[104:105], -0.5, v[106:107]
	v_fma_f64 v[155:156], v[155:156], -0.5, v[108:109]
	v_add_f64 v[188:189], v[120:121], v[135:136]
	v_add_f64 v[190:191], v[118:119], v[133:134]
	v_fma_f64 v[157:158], v[157:158], -0.5, v[110:111]
	v_fma_f64 v[159:160], v[159:160], -0.5, v[112:113]
	v_add_f64 v[196:197], v[122:123], -v[129:130]
	v_add_f64 v[198:199], v[135:136], -v[139:140]
	v_fma_f64 v[161:162], v[161:162], -0.5, v[114:115]
	v_fma_f64 v[165:166], v[165:166], -0.5, v[116:117]
	v_add_f64 v[200:201], v[133:134], -v[137:138]
	v_fma_f64 v[169:170], v[169:170], -0.5, v[118:119]
	v_add_f64 v[106:107], v[163:164], v[145:146]
	v_fma_f64 v[145:146], v[171:172], -0.5, v[120:121]
	v_add_f64 v[104:105], v[167:168], v[143:144]
	v_lshlrev_b32_e32 v240, 4, v206
	v_add_f64 v[110:111], v[126:127], v[153:154]
	v_add_f64 v[122:123], v[184:185], v[131:132]
	;; [unrolled: 1-line block ×4, first 2 shown]
	s_barrier
	buffer_gl0_inv
	v_fma_f64 v[124:125], v[141:142], s[0:1], v[192:193]
	v_fma_f64 v[126:127], v[173:174], s[2:3], v[155:156]
	;; [unrolled: 1-line block ×6, first 2 shown]
	v_add_f64 v[114:115], v[188:189], v[139:140]
	v_add_f64 v[112:113], v[190:191], v[137:138]
	v_fma_f64 v[137:138], v[149:150], s[2:3], v[157:158]
	v_fma_f64 v[139:140], v[147:148], s[0:1], v[159:160]
	v_fma_f64 v[152:153], v[194:195], s[0:1], v[161:162]
	v_fma_f64 v[154:155], v[196:197], s[2:3], v[165:166]
	v_fma_f64 v[116:117], v[194:195], s[2:3], v[161:162]
	v_fma_f64 v[118:119], v[196:197], s[0:1], v[165:166]
	v_fma_f64 v[160:161], v[198:199], s[0:1], v[169:170]
	v_fma_f64 v[162:163], v[200:201], s[2:3], v[145:146]
	v_fma_f64 v[164:165], v[198:199], s[2:3], v[169:170]
	v_fma_f64 v[166:167], v[200:201], s[0:1], v[145:146]
	v_or_b32_e32 v141, v204, v175
	v_or_b32_e32 v142, v205, v202
	s_load_dwordx2 s[2:3], s[4:5], 0x38
                                        ; implicit-def: $vgpr168_vgpr169
                                        ; implicit-def: $vgpr172_vgpr173
	v_lshlrev_b32_e32 v238, 4, v141
	v_lshlrev_b32_e32 v237, 4, v142
	ds_write_b128 v242, v[104:107]
	ds_write_b128 v242, v[124:127] offset:512
	ds_write_b128 v242, v[129:132] offset:1024
	ds_write_b128 v240, v[108:111]
	ds_write_b128 v240, v[133:136] offset:512
	ds_write_b128 v240, v[137:140] offset:1024
	;; [unrolled: 3-line block ×4, first 2 shown]
	s_waitcnt lgkmcnt(0)
	s_barrier
	buffer_gl0_inv
	ds_read_b128 v[156:159], v209
	ds_read_b128 v[140:143], v209 offset:1536
	ds_read_b128 v[136:139], v209 offset:3072
	;; [unrolled: 1-line block ×6, first 2 shown]
	s_and_saveexec_b32 s0, vcc_lo
	s_cbranch_execz .LBB0_3
; %bb.2:
	ds_read_b128 v[152:155], v209 offset:896
	ds_read_b128 v[116:119], v209 offset:2432
	;; [unrolled: 1-line block ×7, first 2 shown]
.LBB0_3:
	s_or_b32 exec_lo, exec_lo, s0
	v_mad_u64_u32 v[148:149], null, 0x60, v210, s[14:15]
	s_mov_b32 s16, 0xe976ee23
	s_mov_b32 s17, 0xbfe11646
	;; [unrolled: 1-line block ×6, first 2 shown]
	s_clause 0x1
	global_load_dwordx4 v[128:131], v[148:149], off offset:1504
	global_load_dwordx4 v[132:135], v[148:149], off offset:1520
	s_mov_b32 s5, 0x3fdc38aa
	s_mov_b32 s23, 0x3fe948f6
	;; [unrolled: 1-line block ×10, first 2 shown]
	s_waitcnt vmcnt(1) lgkmcnt(5)
	v_mul_f64 v[144:145], v[142:143], v[130:131]
	v_mul_f64 v[146:147], v[140:141], v[130:131]
	s_waitcnt vmcnt(0) lgkmcnt(4)
	v_mul_f64 v[150:151], v[138:139], v[134:135]
	v_fma_f64 v[182:183], v[140:141], v[128:129], -v[144:145]
	v_mul_f64 v[140:141], v[136:137], v[134:135]
	v_fma_f64 v[184:185], v[142:143], v[128:129], v[146:147]
	v_fma_f64 v[186:187], v[136:137], v[132:133], -v[150:151]
	v_fma_f64 v[188:189], v[138:139], v[132:133], v[140:141]
	s_clause 0x1
	global_load_dwordx4 v[136:139], v[148:149], off offset:1584
	global_load_dwordx4 v[140:143], v[148:149], off offset:1568
	s_waitcnt vmcnt(1) lgkmcnt(0)
	v_mul_f64 v[144:145], v[126:127], v[138:139]
	v_fma_f64 v[190:191], v[124:125], v[136:137], -v[144:145]
	s_clause 0x1
	global_load_dwordx4 v[144:147], v[148:149], off offset:1536
	global_load_dwordx4 v[148:151], v[148:149], off offset:1552
	v_mul_f64 v[124:125], v[124:125], v[138:139]
	v_fma_f64 v[192:193], v[126:127], v[136:137], v[124:125]
	s_waitcnt vmcnt(2)
	v_mul_f64 v[124:125], v[122:123], v[142:143]
	v_fma_f64 v[194:195], v[120:121], v[140:141], -v[124:125]
	v_mul_f64 v[120:121], v[120:121], v[142:143]
	v_fma_f64 v[196:197], v[122:123], v[140:141], v[120:121]
	s_waitcnt vmcnt(1)
	v_mul_f64 v[120:121], v[110:111], v[146:147]
	v_fma_f64 v[198:199], v[108:109], v[144:145], -v[120:121]
	;; [unrolled: 5-line block ×3, first 2 shown]
	v_mul_f64 v[104:105], v[104:105], v[150:151]
	v_fma_f64 v[204:205], v[106:107], v[148:149], v[104:105]
	v_subrev_nc_u32_e32 v104, 40, v210
	v_cndmask_b32_e32 v104, v104, v181, vcc_lo
	v_mul_i32_i24_e32 v105, 0x60, v104
	v_mul_hi_i32_i24_e32 v104, 0x60, v104
	v_add_co_u32 v124, s0, s14, v105
	v_add_co_ci_u32_e64 v125, s0, s15, v104, s0
	s_clause 0x1
	global_load_dwordx4 v[104:107], v[124:125], off offset:1504
	global_load_dwordx4 v[108:111], v[124:125], off offset:1520
	v_add_f64 v[227:228], v[200:201], v[204:205]
	s_mov_b32 s14, 0xaaaaaaaa
	s_mov_b32 s15, 0xbff2aaaa
	;; [unrolled: 1-line block ×4, first 2 shown]
	s_waitcnt vmcnt(1)
	v_mul_f64 v[120:121], v[118:119], v[106:107]
	v_fma_f64 v[206:207], v[116:117], v[104:105], -v[120:121]
	v_mul_f64 v[116:117], v[116:117], v[106:107]
	v_fma_f64 v[215:216], v[118:119], v[104:105], v[116:117]
	s_waitcnt vmcnt(0)
	v_mul_f64 v[116:117], v[114:115], v[110:111]
	v_fma_f64 v[217:218], v[112:113], v[108:109], -v[116:117]
	v_mul_f64 v[112:113], v[112:113], v[110:111]
	v_fma_f64 v[219:220], v[114:115], v[108:109], v[112:113]
	s_clause 0x1
	global_load_dwordx4 v[112:115], v[124:125], off offset:1584
	global_load_dwordx4 v[116:119], v[124:125], off offset:1568
	s_waitcnt vmcnt(1)
	v_mul_f64 v[120:121], v[174:175], v[114:115]
	v_fma_f64 v[221:222], v[172:173], v[112:113], -v[120:121]
	v_mul_f64 v[120:121], v[172:173], v[114:115]
	v_add_f64 v[172:173], v[198:199], v[202:203]
	v_fma_f64 v[223:224], v[174:175], v[112:113], v[120:121]
	s_waitcnt vmcnt(0)
	v_mul_f64 v[120:121], v[170:171], v[118:119]
	v_add_f64 v[174:175], v[184:185], v[192:193]
	v_fma_f64 v[247:248], v[168:169], v[116:117], -v[120:121]
	v_mul_f64 v[120:121], v[168:169], v[118:119]
	v_fma_f64 v[249:250], v[170:171], v[116:117], v[120:121]
	s_clause 0x1
	global_load_dwordx4 v[120:123], v[124:125], off offset:1536
	global_load_dwordx4 v[124:127], v[124:125], off offset:1552
	v_add_f64 v[170:171], v[186:187], -v[194:195]
	s_waitcnt vmcnt(1)
	v_mul_f64 v[168:169], v[162:163], v[122:123]
	v_fma_f64 v[251:252], v[160:161], v[120:121], -v[168:169]
	v_mul_f64 v[160:161], v[160:161], v[122:123]
	v_fma_f64 v[253:254], v[162:163], v[120:121], v[160:161]
	s_waitcnt vmcnt(0)
	v_mul_f64 v[160:161], v[166:167], v[126:127]
	v_add_f64 v[162:163], v[186:187], v[194:195]
	v_add_f64 v[186:187], v[202:203], -v[198:199]
	v_fma_f64 v[211:212], v[164:165], v[124:125], -v[160:161]
	v_mul_f64 v[160:161], v[164:165], v[126:127]
	v_add_f64 v[198:199], v[186:187], -v[170:171]
	v_fma_f64 v[225:226], v[166:167], v[124:125], v[160:161]
	v_add_f64 v[160:161], v[182:183], v[190:191]
	v_add_f64 v[166:167], v[188:189], v[196:197]
	v_add_f64 v[181:182], v[182:183], -v[190:191]
	v_add_f64 v[188:189], v[188:189], -v[196:197]
	;; [unrolled: 1-line block ×4, first 2 shown]
	v_mul_f64 v[198:199], v[198:199], s[16:17]
	v_add_f64 v[164:165], v[162:163], v[160:161]
	v_add_f64 v[168:169], v[166:167], v[174:175]
	v_add_f64 v[194:195], v[166:167], -v[174:175]
	v_add_f64 v[196:197], v[227:228], -v[166:167]
	v_add_f64 v[166:167], v[186:187], v[170:171]
	v_add_f64 v[200:201], v[170:171], -v[181:182]
	v_add_f64 v[170:171], v[190:191], -v[188:189]
	v_add_f64 v[192:193], v[162:163], -v[160:161]
	v_add_f64 v[162:163], v[172:173], -v[162:163]
	v_add_f64 v[202:203], v[190:191], v[188:189]
	v_add_f64 v[188:189], v[188:189], -v[183:184]
	v_add_f64 v[160:161], v[160:161], -v[172:173]
	;; [unrolled: 1-line block ×4, first 2 shown]
	v_add_f64 v[164:165], v[172:173], v[164:165]
	v_add_f64 v[168:169], v[227:228], v[168:169]
	v_add_f64 v[172:173], v[174:175], -v[227:228]
	v_add_f64 v[227:228], v[253:254], v[225:226]
	v_add_f64 v[229:230], v[166:167], v[181:182]
	v_mul_f64 v[174:175], v[200:201], s[18:19]
	v_mul_f64 v[204:205], v[170:171], s[16:17]
	;; [unrolled: 1-line block ×4, first 2 shown]
	v_add_f64 v[202:203], v[202:203], v[183:184]
	v_mul_f64 v[181:182], v[188:189], s[18:19]
	v_mul_f64 v[160:161], v[160:161], s[22:23]
	v_add_f64 v[156:157], v[156:157], v[164:165]
	v_add_f64 v[158:159], v[158:159], v[168:169]
	v_fma_f64 v[170:171], v[194:195], s[6:7], -v[170:171]
	v_fma_f64 v[166:167], v[192:193], s[6:7], -v[166:167]
	v_fma_f64 v[231:232], v[164:165], s[14:15], v[156:157]
	v_fma_f64 v[164:165], v[200:201], s[18:19], -v[198:199]
	v_fma_f64 v[233:234], v[168:169], s[14:15], v[158:159]
	v_add_f64 v[243:244], v[166:167], v[231:232]
	v_fma_f64 v[235:236], v[229:230], s[4:5], v[164:165]
	v_fma_f64 v[164:165], v[188:189], s[18:19], -v[204:205]
	v_mul_f64 v[187:188], v[172:173], s[22:23]
	v_fma_f64 v[172:173], v[185:186], s[26:27], -v[174:175]
	v_fma_f64 v[174:175], v[190:191], s[26:27], -v[181:182]
	;; [unrolled: 1-line block ×3, first 2 shown]
	v_fma_f64 v[189:190], v[190:191], s[24:25], v[204:205]
	v_fma_f64 v[160:161], v[162:163], s[0:1], v[160:161]
	;; [unrolled: 1-line block ×3, first 2 shown]
	v_add_f64 v[170:171], v[170:171], v[233:234]
	v_fma_f64 v[168:169], v[202:203], s[4:5], v[164:165]
	v_fma_f64 v[183:184], v[194:195], s[20:21], -v[187:188]
	v_fma_f64 v[192:193], v[229:230], s[4:5], v[172:173]
	v_fma_f64 v[194:195], v[202:203], s[4:5], v[174:175]
	v_add_f64 v[181:182], v[181:182], v[231:232]
	v_fma_f64 v[162:163], v[196:197], s[0:1], v[187:188]
	v_fma_f64 v[189:190], v[202:203], s[4:5], v[189:190]
	v_add_f64 v[160:161], v[160:161], v[231:232]
	v_add_f64 v[197:198], v[251:252], v[211:212]
	v_add_f64 v[201:202], v[215:216], v[223:224]
	v_add_f64 v[203:204], v[219:220], v[249:250]
	v_add_f64 v[166:167], v[235:236], v[170:171]
	v_add_f64 v[170:171], v[170:171], -v[235:236]
	v_add_f64 v[164:165], v[243:244], -v[168:169]
	v_add_f64 v[183:184], v[183:184], v[233:234]
	v_add_f64 v[168:169], v[168:169], v[243:244]
	;; [unrolled: 1-line block ×3, first 2 shown]
	v_add_f64 v[181:182], v[181:182], -v[194:195]
	v_add_f64 v[195:196], v[217:218], v[247:248]
	v_add_f64 v[162:163], v[162:163], v[233:234]
	v_add_f64 v[174:175], v[183:184], -v[192:193]
	v_add_f64 v[183:184], v[192:193], v[183:184]
	v_add_f64 v[193:194], v[206:207], v[221:222]
	v_fma_f64 v[191:192], v[229:230], s[4:5], v[185:186]
	v_add_f64 v[185:186], v[189:190], v[160:161]
	v_add_f64 v[189:190], v[160:161], -v[189:190]
	v_add_f64 v[160:161], v[195:196], v[193:194]
	v_add_f64 v[187:188], v[162:163], -v[191:192]
	v_add_f64 v[191:192], v[191:192], v[162:163]
	ds_write_b128 v209, v[156:159]
	ds_write_b128 v209, v[185:188] offset:1536
	ds_write_b128 v209, v[172:175] offset:3072
	;; [unrolled: 1-line block ×6, first 2 shown]
	v_add_f64 v[199:200], v[197:198], v[160:161]
	v_add_f64 v[160:161], v[203:204], v[201:202]
	v_add_f64 v[156:157], v[206:207], -v[221:222]
	v_add_f64 v[158:159], v[215:216], -v[223:224]
	;; [unrolled: 1-line block ×10, first 2 shown]
	v_add_f64 v[229:230], v[227:228], v[160:161]
	v_add_f64 v[160:161], v[152:153], v[199:200]
	v_add_f64 v[152:153], v[217:218], -v[247:248]
	v_add_f64 v[162:163], v[154:155], v[229:230]
	v_add_f64 v[154:155], v[211:212], -v[251:252]
	v_fma_f64 v[199:200], v[199:200], s[14:15], v[160:161]
	v_fma_f64 v[205:206], v[229:230], s[14:15], v[162:163]
	v_add_f64 v[181:182], v[154:155], v[152:153]
	v_add_f64 v[183:184], v[154:155], -v[152:153]
	v_add_f64 v[154:155], v[156:157], -v[154:155]
	;; [unrolled: 1-line block ×3, first 2 shown]
	v_add_f64 v[197:198], v[181:182], v[156:157]
	v_add_f64 v[156:157], v[166:167], v[164:165]
	v_add_f64 v[181:182], v[166:167], -v[164:165]
	v_add_f64 v[164:165], v[164:165], -v[158:159]
	;; [unrolled: 1-line block ×3, first 2 shown]
	v_mul_f64 v[201:202], v[183:184], s[16:17]
	v_mul_f64 v[203:204], v[152:153], s[18:19]
	;; [unrolled: 1-line block ×3, first 2 shown]
	v_add_f64 v[207:208], v[156:157], v[158:159]
	v_mul_f64 v[181:182], v[181:182], s[16:17]
	v_mul_f64 v[189:190], v[164:165], s[18:19]
	;; [unrolled: 1-line block ×3, first 2 shown]
	v_fma_f64 v[158:159], v[154:155], s[24:25], v[201:202]
	v_fma_f64 v[154:155], v[154:155], s[26:27], -v[203:204]
	v_fma_f64 v[183:184], v[168:169], s[20:21], -v[152:153]
	v_fma_f64 v[152:153], v[172:173], s[0:1], v[152:153]
	v_fma_f64 v[164:165], v[166:167], s[24:25], v[181:182]
	v_fma_f64 v[170:171], v[166:167], s[26:27], -v[189:190]
	v_fma_f64 v[193:194], v[187:188], s[20:21], -v[156:157]
	v_fma_f64 v[156:157], v[195:196], s[0:1], v[156:157]
	v_fma_f64 v[166:167], v[197:198], s[4:5], v[158:159]
	;; [unrolled: 1-line block ×3, first 2 shown]
	v_add_f64 v[185:186], v[183:184], v[199:200]
	v_fma_f64 v[164:165], v[207:208], s[4:5], v[164:165]
	v_fma_f64 v[174:175], v[207:208], s[4:5], v[170:171]
	v_add_f64 v[193:194], v[193:194], v[205:206]
	v_add_f64 v[170:171], v[152:153], v[199:200]
	;; [unrolled: 1-line block ×3, first 2 shown]
	v_add_f64 v[152:153], v[185:186], -v[174:175]
	v_add_f64 v[154:155], v[191:192], v[193:194]
	v_add_f64 v[156:157], v[170:171], -v[164:165]
	v_add_f64 v[158:159], v[166:167], v[183:184]
	s_and_saveexec_b32 s14, vcc_lo
	s_cbranch_execz .LBB0_5
; %bb.4:
	v_mul_f64 v[195:196], v[195:196], s[0:1]
	v_mul_f64 v[187:188], v[187:188], s[6:7]
	;; [unrolled: 1-line block ×6, first 2 shown]
	v_add_f64 v[201:202], v[203:204], -v[201:202]
	v_add_f64 v[181:182], v[189:190], -v[181:182]
	;; [unrolled: 1-line block ×3, first 2 shown]
	v_add_f64 v[164:165], v[164:165], v[170:171]
	v_add_f64 v[185:186], v[174:175], v[185:186]
	v_add_f64 v[187:188], v[187:188], -v[195:196]
	v_add_f64 v[168:169], v[168:169], -v[172:173]
	v_add_f64 v[172:173], v[197:198], v[201:202]
	v_add_f64 v[181:182], v[207:208], v[181:182]
	;; [unrolled: 1-line block ×3, first 2 shown]
	v_add_f64 v[187:188], v[193:194], -v[191:192]
	v_add_f64 v[168:169], v[168:169], v[199:200]
	v_add_f64 v[170:171], v[189:190], -v[172:173]
	v_add_f64 v[174:175], v[172:173], v[189:190]
	;; [unrolled: 2-line block ×3, first 2 shown]
	ds_write_b128 v209, v[160:163] offset:896
	ds_write_b128 v209, v[152:155] offset:8576
	;; [unrolled: 1-line block ×7, first 2 shown]
.LBB0_5:
	s_or_b32 exec_lo, exec_lo, s14
	v_lshlrev_b32_e32 v195, 4, v210
	s_add_u32 s0, s12, 0x2a00
	s_addc_u32 s1, s13, 0
	s_waitcnt lgkmcnt(0)
	s_barrier
	buffer_gl0_inv
	s_clause 0x1
	global_load_dwordx4 v[160:163], v214, s[0:1]
	global_load_dwordx4 v[164:167], v195, s[0:1]
	ds_read_b128 v[168:171], v209 offset:7168
	ds_read_b128 v[172:175], v209 offset:8064
	s_mov_b32 s5, 0x3febb67a
	s_waitcnt vmcnt(1) lgkmcnt(1)
	v_mul_f64 v[181:182], v[170:171], v[162:163]
	v_mul_f64 v[162:163], v[168:169], v[162:163]
	v_fma_f64 v[168:169], v[168:169], v[160:161], -v[181:182]
	v_fma_f64 v[170:171], v[170:171], v[160:161], v[162:163]
	ds_read_b128 v[160:163], v209
	ds_read_b128 v[181:184], v209 offset:896
	s_waitcnt vmcnt(0) lgkmcnt(1)
	v_mul_f64 v[185:186], v[162:163], v[166:167]
	v_mul_f64 v[166:167], v[160:161], v[166:167]
	v_fma_f64 v[160:161], v[160:161], v[164:165], -v[185:186]
	v_fma_f64 v[162:163], v[162:163], v[164:165], v[166:167]
	s_clause 0x1
	global_load_dwordx4 v[164:167], v195, s[0:1] offset:896
	global_load_dwordx4 v[185:188], v195, s[0:1] offset:1792
	v_add_co_u32 v216, s0, s0, v195
	v_add_co_ci_u32_e64 v217, null, s1, 0, s0
	s_waitcnt vmcnt(1) lgkmcnt(0)
	v_mul_f64 v[189:190], v[183:184], v[166:167]
	v_mul_f64 v[166:167], v[181:182], v[166:167]
	v_fma_f64 v[181:182], v[181:182], v[164:165], -v[189:190]
	v_fma_f64 v[183:184], v[183:184], v[164:165], v[166:167]
	ds_read_b128 v[164:167], v209 offset:1792
	ds_read_b128 v[189:192], v209 offset:2688
	s_waitcnt vmcnt(0) lgkmcnt(1)
	v_mul_f64 v[193:194], v[166:167], v[187:188]
	v_mul_f64 v[187:188], v[164:165], v[187:188]
	v_fma_f64 v[164:165], v[164:165], v[185:186], -v[193:194]
	v_add_co_u32 v193, s0, 0x1000, v216
	v_add_co_ci_u32_e64 v194, s0, 0, v217, s0
	v_fma_f64 v[166:167], v[166:167], v[185:186], v[187:188]
	s_clause 0x1
	global_load_dwordx4 v[185:188], v[193:194], off offset:1280
	global_load_dwordx4 v[193:196], v[193:194], off offset:384
	ds_read_b128 v[197:200], v209 offset:5376
	ds_read_b128 v[201:204], v209 offset:6272
	s_waitcnt vmcnt(1) lgkmcnt(1)
	v_mul_f64 v[205:206], v[199:200], v[187:188]
	v_mul_f64 v[187:188], v[197:198], v[187:188]
	v_fma_f64 v[197:198], v[197:198], v[185:186], -v[205:206]
	v_add_co_u32 v205, s0, 0x1800, v216
	v_add_co_ci_u32_e64 v206, s0, 0, v217, s0
	v_fma_f64 v[199:200], v[199:200], v[185:186], v[187:188]
	s_clause 0x1
	global_load_dwordx4 v[185:188], v[205:206], off offset:128
	global_load_dwordx4 v[205:208], v[205:206], off offset:1920
	s_waitcnt vmcnt(1) lgkmcnt(0)
	v_mul_f64 v[211:212], v[203:204], v[187:188]
	v_mul_f64 v[187:188], v[201:202], v[187:188]
	v_fma_f64 v[201:202], v[201:202], v[185:186], -v[211:212]
	v_add_co_u32 v211, s0, 0x800, v216
	v_add_co_ci_u32_e64 v212, s0, 0, v217, s0
	v_fma_f64 v[203:204], v[203:204], v[185:186], v[187:188]
	s_clause 0x1
	global_load_dwordx4 v[185:188], v[211:212], off offset:640
	global_load_dwordx4 v[247:250], v[211:212], off offset:1536
	s_waitcnt vmcnt(1)
	v_mul_f64 v[211:212], v[191:192], v[187:188]
	v_mul_f64 v[214:215], v[189:190], v[187:188]
	v_fma_f64 v[187:188], v[189:190], v[185:186], -v[211:212]
	v_fma_f64 v[189:190], v[191:192], v[185:186], v[214:215]
	v_mul_f64 v[185:186], v[174:175], v[207:208]
	v_mul_f64 v[191:192], v[172:173], v[207:208]
	v_fma_f64 v[172:173], v[172:173], v[205:206], -v[185:186]
	v_fma_f64 v[174:175], v[174:175], v[205:206], v[191:192]
	ds_read_b128 v[205:208], v209 offset:3584
	ds_read_b128 v[251:254], v209 offset:4480
	s_waitcnt vmcnt(0) lgkmcnt(1)
	v_mul_f64 v[185:186], v[207:208], v[249:250]
	v_mul_f64 v[191:192], v[205:206], v[249:250]
	v_fma_f64 v[205:206], v[205:206], v[247:248], -v[185:186]
	v_add_co_u32 v185, s0, 0x2000, v216
	v_add_co_ci_u32_e64 v186, s0, 0, v217, s0
	v_fma_f64 v[207:208], v[207:208], v[247:248], v[191:192]
	s_clause 0x1
	global_load_dwordx4 v[247:250], v[185:186], off offset:768
	global_load_dwordx4 v[214:217], v[185:186], off offset:1664
	ds_read_b128 v[218:221], v209 offset:8960
	ds_read_b128 v[222:225], v209 offset:9856
	s_mov_b32 s0, 0xe8584caa
	s_mov_b32 s1, 0xbfebb67a
	;; [unrolled: 1-line block ×3, first 2 shown]
	s_waitcnt vmcnt(1) lgkmcnt(1)
	v_mul_f64 v[185:186], v[220:221], v[249:250]
	v_mul_f64 v[191:192], v[218:219], v[249:250]
	v_fma_f64 v[218:219], v[218:219], v[247:248], -v[185:186]
	v_mul_f64 v[185:186], v[253:254], v[195:196]
	v_mul_f64 v[195:196], v[251:252], v[195:196]
	v_fma_f64 v[220:221], v[220:221], v[247:248], v[191:192]
	v_fma_f64 v[191:192], v[251:252], v[193:194], -v[185:186]
	v_fma_f64 v[193:194], v[253:254], v[193:194], v[195:196]
	s_waitcnt vmcnt(0) lgkmcnt(0)
	v_mul_f64 v[185:186], v[224:225], v[216:217]
	v_mul_f64 v[195:196], v[222:223], v[216:217]
	v_fma_f64 v[222:223], v[222:223], v[214:215], -v[185:186]
	v_fma_f64 v[224:225], v[224:225], v[214:215], v[195:196]
	ds_write_b128 v209, v[168:171] offset:7168
	ds_write_b128 v209, v[160:163]
	ds_write_b128 v209, v[181:184] offset:896
	ds_write_b128 v209, v[164:167] offset:1792
	;; [unrolled: 1-line block ×10, first 2 shown]
	s_waitcnt lgkmcnt(0)
	s_barrier
	buffer_gl0_inv
	ds_read_b128 v[160:163], v209 offset:5376
	ds_read_b128 v[164:167], v209
	ds_read_b128 v[168:171], v209 offset:896
	ds_read_b128 v[172:175], v209 offset:6272
	;; [unrolled: 1-line block ×10, first 2 shown]
	s_waitcnt lgkmcnt(0)
	s_barrier
	buffer_gl0_inv
	v_add_f64 v[160:161], v[164:165], -v[160:161]
	v_add_f64 v[162:163], v[166:167], -v[162:163]
	v_fma_f64 v[164:165], v[164:165], 2.0, -v[160:161]
	v_fma_f64 v[166:167], v[166:167], 2.0, -v[162:163]
	ds_write_b128 v213, v[160:163] offset:16
	ds_write_b128 v213, v[164:167]
	v_add_f64 v[160:161], v[168:169], -v[172:173]
	v_add_f64 v[162:163], v[170:171], -v[174:175]
	v_fma_f64 v[164:165], v[168:169], 2.0, -v[160:161]
	buffer_load_dword v168, off, s[28:31], 0 offset:52 ; 4-byte Folded Reload
	v_fma_f64 v[166:167], v[170:171], 2.0, -v[162:163]
	s_waitcnt vmcnt(0)
	ds_write_b128 v168, v[164:167]
	ds_write_b128 v168, v[160:163] offset:16
	buffer_load_dword v168, off, s[28:31], 0 offset:40 ; 4-byte Folded Reload
	v_add_f64 v[160:161], v[181:182], -v[189:190]
	v_add_f64 v[162:163], v[183:184], -v[191:192]
	v_fma_f64 v[164:165], v[181:182], 2.0, -v[160:161]
	v_fma_f64 v[166:167], v[183:184], 2.0, -v[162:163]
	s_waitcnt vmcnt(0)
	ds_write_b128 v168, v[164:167]
	ds_write_b128 v168, v[160:163] offset:16
	buffer_load_dword v168, off, s[28:31], 0 offset:28 ; 4-byte Folded Reload
	v_add_f64 v[160:161], v[185:186], -v[193:194]
	v_add_f64 v[162:163], v[187:188], -v[195:196]
	v_fma_f64 v[164:165], v[185:186], 2.0, -v[160:161]
	;; [unrolled: 8-line block ×4, first 2 shown]
	v_fma_f64 v[166:167], v[203:204], 2.0, -v[162:163]
	s_waitcnt vmcnt(0)
	ds_write_b128 v168, v[164:167]
	ds_write_b128 v168, v[160:163] offset:16
	s_waitcnt lgkmcnt(0)
	s_barrier
	buffer_gl0_inv
	ds_read_b128 v[160:163], v209 offset:5376
	ds_read_b128 v[164:167], v209 offset:6272
	s_waitcnt lgkmcnt(1)
	v_mul_f64 v[168:169], v[50:51], v[162:163]
	v_fma_f64 v[168:169], v[48:49], v[160:161], v[168:169]
	v_mul_f64 v[160:161], v[50:51], v[160:161]
	v_fma_f64 v[170:171], v[48:49], v[162:163], -v[160:161]
	s_waitcnt lgkmcnt(0)
	v_mul_f64 v[160:161], v[50:51], v[166:167]
	v_fma_f64 v[189:190], v[48:49], v[164:165], v[160:161]
	v_mul_f64 v[160:161], v[50:51], v[164:165]
	v_fma_f64 v[191:192], v[48:49], v[166:167], -v[160:161]
	ds_read_b128 v[160:163], v209 offset:7168
	ds_read_b128 v[164:167], v209 offset:8064
	s_waitcnt lgkmcnt(1)
	v_mul_f64 v[172:173], v[50:51], v[162:163]
	v_fma_f64 v[193:194], v[48:49], v[160:161], v[172:173]
	v_mul_f64 v[160:161], v[50:51], v[160:161]
	v_fma_f64 v[195:196], v[48:49], v[162:163], -v[160:161]
	s_waitcnt lgkmcnt(0)
	v_mul_f64 v[160:161], v[50:51], v[166:167]
	v_fma_f64 v[197:198], v[48:49], v[164:165], v[160:161]
	v_mul_f64 v[160:161], v[50:51], v[164:165]
	v_fma_f64 v[199:200], v[48:49], v[166:167], -v[160:161]
	ds_read_b128 v[160:163], v209 offset:8960
	ds_read_b128 v[164:167], v209 offset:9856
	s_waitcnt lgkmcnt(1)
	v_mul_f64 v[172:173], v[50:51], v[162:163]
	v_fma_f64 v[201:202], v[48:49], v[160:161], v[172:173]
	v_mul_f64 v[160:161], v[50:51], v[160:161]
	v_fma_f64 v[203:204], v[48:49], v[162:163], -v[160:161]
	s_waitcnt lgkmcnt(0)
	v_mul_f64 v[160:161], v[50:51], v[166:167]
	v_mul_f64 v[50:51], v[50:51], v[164:165]
	v_fma_f64 v[205:206], v[48:49], v[164:165], v[160:161]
	v_fma_f64 v[207:208], v[48:49], v[166:167], -v[50:51]
	ds_read_b128 v[48:51], v209
	ds_read_b128 v[160:163], v209 offset:896
	s_waitcnt lgkmcnt(1)
	v_add_f64 v[164:165], v[48:49], -v[168:169]
	v_add_f64 v[166:167], v[50:51], -v[170:171]
	ds_read_b128 v[168:171], v209 offset:1792
	ds_read_b128 v[172:175], v209 offset:2688
	;; [unrolled: 1-line block ×4, first 2 shown]
	s_waitcnt lgkmcnt(0)
	s_barrier
	buffer_gl0_inv
	buffer_load_dword v211, off, s[28:31], 0 offset:56 ; 4-byte Folded Reload
	v_fma_f64 v[48:49], v[48:49], 2.0, -v[164:165]
	v_fma_f64 v[50:51], v[50:51], 2.0, -v[166:167]
	s_waitcnt vmcnt(0)
	ds_write_b128 v211, v[164:167] offset:32
	ds_write_b128 v211, v[48:51]
	buffer_load_dword v164, off, s[28:31], 0 offset:64 ; 4-byte Folded Reload
	v_add_f64 v[48:49], v[160:161], -v[189:190]
	v_add_f64 v[50:51], v[162:163], -v[191:192]
	v_fma_f64 v[160:161], v[160:161], 2.0, -v[48:49]
	v_fma_f64 v[162:163], v[162:163], 2.0, -v[50:51]
	s_waitcnt vmcnt(0)
	ds_write_b128 v164, v[160:163]
	ds_write_b128 v164, v[48:51] offset:32
	buffer_load_dword v164, off, s[28:31], 0 offset:44 ; 4-byte Folded Reload
	v_add_f64 v[48:49], v[168:169], -v[193:194]
	v_add_f64 v[50:51], v[170:171], -v[195:196]
	v_fma_f64 v[160:161], v[168:169], 2.0, -v[48:49]
	v_fma_f64 v[162:163], v[170:171], 2.0, -v[50:51]
	s_waitcnt vmcnt(0)
	ds_write_b128 v164, v[160:163]
	ds_write_b128 v164, v[48:51] offset:32
	;; [unrolled: 8-line block ×5, first 2 shown]
	s_waitcnt lgkmcnt(0)
	s_barrier
	buffer_gl0_inv
	ds_read_b128 v[48:51], v209 offset:5376
	ds_read_b128 v[160:163], v209 offset:6272
	s_waitcnt lgkmcnt(1)
	v_mul_f64 v[164:165], v[54:55], v[50:51]
	v_fma_f64 v[164:165], v[52:53], v[48:49], v[164:165]
	v_mul_f64 v[48:49], v[54:55], v[48:49]
	v_fma_f64 v[166:167], v[52:53], v[50:51], -v[48:49]
	s_waitcnt lgkmcnt(0)
	v_mul_f64 v[48:49], v[54:55], v[162:163]
	v_fma_f64 v[185:186], v[52:53], v[160:161], v[48:49]
	v_mul_f64 v[48:49], v[54:55], v[160:161]
	v_fma_f64 v[187:188], v[52:53], v[162:163], -v[48:49]
	ds_read_b128 v[48:51], v209 offset:7168
	ds_read_b128 v[160:163], v209 offset:8064
	s_waitcnt lgkmcnt(1)
	v_mul_f64 v[168:169], v[54:55], v[50:51]
	v_fma_f64 v[189:190], v[52:53], v[48:49], v[168:169]
	v_mul_f64 v[48:49], v[54:55], v[48:49]
	v_fma_f64 v[191:192], v[52:53], v[50:51], -v[48:49]
	s_waitcnt lgkmcnt(0)
	v_mul_f64 v[48:49], v[54:55], v[162:163]
	v_fma_f64 v[193:194], v[52:53], v[160:161], v[48:49]
	v_mul_f64 v[48:49], v[54:55], v[160:161]
	v_fma_f64 v[195:196], v[52:53], v[162:163], -v[48:49]
	;; [unrolled: 12-line block ×3, first 2 shown]
	ds_read_b128 v[48:51], v209
	ds_read_b128 v[52:55], v209 offset:896
	s_waitcnt lgkmcnt(1)
	v_add_f64 v[160:161], v[48:49], -v[164:165]
	v_add_f64 v[162:163], v[50:51], -v[166:167]
	ds_read_b128 v[164:167], v209 offset:1792
	ds_read_b128 v[168:171], v209 offset:2688
	;; [unrolled: 1-line block ×4, first 2 shown]
	s_waitcnt lgkmcnt(0)
	s_barrier
	buffer_gl0_inv
	buffer_load_dword v205, off, s[28:31], 0 offset:60 ; 4-byte Folded Reload
	v_fma_f64 v[48:49], v[48:49], 2.0, -v[160:161]
	v_fma_f64 v[50:51], v[50:51], 2.0, -v[162:163]
	s_waitcnt vmcnt(0)
	ds_write_b128 v205, v[160:163] offset:64
	ds_write_b128 v205, v[48:51]
	buffer_load_dword v160, off, s[28:31], 0 offset:72 ; 4-byte Folded Reload
	v_add_f64 v[48:49], v[52:53], -v[185:186]
	v_add_f64 v[50:51], v[54:55], -v[187:188]
	v_fma_f64 v[52:53], v[52:53], 2.0, -v[48:49]
	v_fma_f64 v[54:55], v[54:55], 2.0, -v[50:51]
	s_waitcnt vmcnt(0)
	ds_write_b128 v160, v[52:55]
	ds_write_b128 v160, v[48:51] offset:64
	buffer_load_dword v160, off, s[28:31], 0 offset:48 ; 4-byte Folded Reload
	v_add_f64 v[48:49], v[164:165], -v[189:190]
	v_add_f64 v[50:51], v[166:167], -v[191:192]
	v_fma_f64 v[52:53], v[164:165], 2.0, -v[48:49]
	v_fma_f64 v[54:55], v[166:167], 2.0, -v[50:51]
	s_waitcnt vmcnt(0)
	ds_write_b128 v160, v[52:55]
	ds_write_b128 v160, v[48:51] offset:64
	;; [unrolled: 8-line block ×5, first 2 shown]
	s_waitcnt lgkmcnt(0)
	s_barrier
	buffer_gl0_inv
	ds_read_b128 v[48:51], v209 offset:5376
	ds_read_b128 v[52:55], v209 offset:6272
	s_waitcnt lgkmcnt(1)
	v_mul_f64 v[160:161], v[58:59], v[50:51]
	v_fma_f64 v[160:161], v[56:57], v[48:49], v[160:161]
	v_mul_f64 v[48:49], v[58:59], v[48:49]
	v_fma_f64 v[162:163], v[56:57], v[50:51], -v[48:49]
	s_waitcnt lgkmcnt(0)
	v_mul_f64 v[48:49], v[58:59], v[54:55]
	v_fma_f64 v[181:182], v[56:57], v[52:53], v[48:49]
	v_mul_f64 v[48:49], v[58:59], v[52:53]
	v_fma_f64 v[183:184], v[56:57], v[54:55], -v[48:49]
	ds_read_b128 v[48:51], v209 offset:7168
	ds_read_b128 v[52:55], v209 offset:8064
	s_waitcnt lgkmcnt(1)
	v_mul_f64 v[164:165], v[58:59], v[50:51]
	v_fma_f64 v[185:186], v[56:57], v[48:49], v[164:165]
	v_mul_f64 v[48:49], v[58:59], v[48:49]
	v_fma_f64 v[187:188], v[56:57], v[50:51], -v[48:49]
	s_waitcnt lgkmcnt(0)
	v_mul_f64 v[48:49], v[58:59], v[54:55]
	v_fma_f64 v[189:190], v[56:57], v[52:53], v[48:49]
	v_mul_f64 v[48:49], v[58:59], v[52:53]
	v_fma_f64 v[191:192], v[56:57], v[54:55], -v[48:49]
	;; [unrolled: 12-line block ×3, first 2 shown]
	ds_read_b128 v[48:51], v209
	ds_read_b128 v[52:55], v209 offset:896
	s_waitcnt lgkmcnt(1)
	v_add_f64 v[56:57], v[48:49], -v[160:161]
	v_add_f64 v[58:59], v[50:51], -v[162:163]
	ds_read_b128 v[160:163], v209 offset:1792
	ds_read_b128 v[164:167], v209 offset:2688
	;; [unrolled: 1-line block ×4, first 2 shown]
	s_waitcnt lgkmcnt(0)
	s_barrier
	buffer_gl0_inv
	buffer_load_dword v201, off, s[28:31], 0 offset:88 ; 4-byte Folded Reload
	v_fma_f64 v[48:49], v[48:49], 2.0, -v[56:57]
	v_fma_f64 v[50:51], v[50:51], 2.0, -v[58:59]
	s_waitcnt vmcnt(0)
	ds_write_b128 v201, v[56:59] offset:128
	ds_write_b128 v201, v[48:51]
	buffer_load_dword v56, off, s[28:31], 0 offset:92 ; 4-byte Folded Reload
	v_add_f64 v[48:49], v[52:53], -v[181:182]
	v_add_f64 v[50:51], v[54:55], -v[183:184]
	;; [unrolled: 1-line block ×3, first 2 shown]
	v_fma_f64 v[52:53], v[52:53], 2.0, -v[48:49]
	v_fma_f64 v[54:55], v[54:55], 2.0, -v[50:51]
	s_waitcnt vmcnt(0)
	ds_write_b128 v56, v[52:55]
	ds_write_b128 v56, v[48:51] offset:128
	buffer_load_dword v56, off, s[28:31], 0 offset:84 ; 4-byte Folded Reload
	v_add_f64 v[48:49], v[160:161], -v[185:186]
	v_add_f64 v[50:51], v[162:163], -v[187:188]
	v_fma_f64 v[52:53], v[160:161], 2.0, -v[48:49]
	v_fma_f64 v[54:55], v[162:163], 2.0, -v[50:51]
	;; [unrolled: 1-line block ×3, first 2 shown]
	s_waitcnt vmcnt(0)
	ds_write_b128 v56, v[52:55]
	ds_write_b128 v56, v[48:51] offset:128
	buffer_load_dword v56, off, s[28:31], 0 offset:80 ; 4-byte Folded Reload
	v_add_f64 v[48:49], v[164:165], -v[189:190]
	v_add_f64 v[50:51], v[166:167], -v[191:192]
	v_fma_f64 v[52:53], v[164:165], 2.0, -v[48:49]
	v_fma_f64 v[54:55], v[166:167], 2.0, -v[50:51]
	s_waitcnt vmcnt(0)
	ds_write_b128 v56, v[52:55]
	ds_write_b128 v56, v[48:51] offset:128
	buffer_load_dword v164, off, s[28:31], 0 offset:76 ; 4-byte Folded Reload
	v_add_f64 v[48:49], v[168:169], -v[193:194]
	v_add_f64 v[50:51], v[170:171], -v[195:196]
	;; [unrolled: 1-line block ×3, first 2 shown]
	v_fma_f64 v[52:53], v[168:169], 2.0, -v[48:49]
	v_fma_f64 v[54:55], v[170:171], 2.0, -v[50:51]
	v_fma_f64 v[160:161], v[172:173], 2.0, -v[56:57]
	s_waitcnt vmcnt(0)
	ds_write_b128 v164, v[52:55]
	ds_write_b128 v164, v[48:51] offset:128
	buffer_load_dword v48, off, s[28:31], 0 offset:68 ; 4-byte Folded Reload
	s_waitcnt vmcnt(0)
	ds_write_b128 v48, v[160:163]
	ds_write_b128 v48, v[56:59] offset:128
	s_waitcnt lgkmcnt(0)
	s_barrier
	buffer_gl0_inv
	ds_read_b128 v[48:51], v209 offset:8064
	ds_read_b128 v[52:55], v209 offset:7168
	;; [unrolled: 1-line block ×3, first 2 shown]
	s_waitcnt lgkmcnt(2)
	v_mul_f64 v[160:161], v[70:71], v[50:51]
	v_mul_f64 v[70:71], v[70:71], v[48:49]
	v_fma_f64 v[164:165], v[68:69], v[48:49], v[160:161]
	v_fma_f64 v[166:167], v[68:69], v[50:51], -v[70:71]
	ds_read_b128 v[48:51], v209 offset:6272
	s_waitcnt lgkmcnt(1)
	v_mul_f64 v[68:69], v[66:67], v[58:59]
	v_mul_f64 v[70:71], v[66:67], v[56:57]
	v_fma_f64 v[68:69], v[64:65], v[56:57], v[68:69]
	v_fma_f64 v[70:71], v[64:65], v[58:59], -v[70:71]
	v_mul_f64 v[56:57], v[66:67], v[54:55]
	v_mul_f64 v[58:59], v[66:67], v[52:53]
	v_fma_f64 v[168:169], v[64:65], v[52:53], v[56:57]
	v_fma_f64 v[170:171], v[64:65], v[54:55], -v[58:59]
	ds_read_b128 v[52:55], v209 offset:8960
	ds_read_b128 v[56:59], v209 offset:9856
	s_waitcnt lgkmcnt(1)
	v_mul_f64 v[160:161], v[66:67], v[54:55]
	v_fma_f64 v[172:173], v[64:65], v[52:53], v[160:161]
	v_mul_f64 v[52:53], v[66:67], v[52:53]
	v_fma_f64 v[174:175], v[64:65], v[54:55], -v[52:53]
	s_waitcnt lgkmcnt(0)
	v_mul_f64 v[52:53], v[179:180], v[58:59]
	v_mul_f64 v[54:55], v[179:180], v[56:57]
	v_fma_f64 v[179:180], v[60:61], v[56:57], v[52:53]
	v_fma_f64 v[181:182], v[60:61], v[58:59], -v[54:55]
	v_mul_f64 v[52:53], v[62:63], v[50:51]
	v_mul_f64 v[54:55], v[62:63], v[48:49]
	v_fma_f64 v[183:184], v[177:178], v[48:49], v[52:53]
	v_fma_f64 v[177:178], v[177:178], v[50:51], -v[54:55]
	ds_read_b128 v[48:51], v209
	ds_read_b128 v[52:55], v209 offset:896
	s_waitcnt lgkmcnt(1)
	v_add_f64 v[56:57], v[48:49], -v[68:69]
	v_add_f64 v[58:59], v[50:51], -v[70:71]
	ds_read_b128 v[60:63], v209 offset:1792
	ds_read_b128 v[64:67], v209 offset:2688
	;; [unrolled: 1-line block ×4, first 2 shown]
	s_waitcnt lgkmcnt(0)
	s_barrier
	buffer_gl0_inv
	v_fma_f64 v[48:49], v[48:49], 2.0, -v[56:57]
	v_fma_f64 v[50:51], v[50:51], 2.0, -v[58:59]
	ds_write_b128 v245, v[56:59] offset:256
	ds_write_b128 v245, v[48:51]
	v_add_f64 v[48:49], v[52:53], -v[183:184]
	v_add_f64 v[50:51], v[54:55], -v[177:178]
	;; [unrolled: 1-line block ×6, first 2 shown]
	v_fma_f64 v[52:53], v[52:53], 2.0, -v[48:49]
	v_fma_f64 v[54:55], v[54:55], 2.0, -v[50:51]
	ds_write_b128 v246, v[52:55]
	ds_write_b128 v246, v[48:51] offset:256
	v_add_f64 v[48:49], v[60:61], -v[168:169]
	v_add_f64 v[50:51], v[62:63], -v[170:171]
	v_fma_f64 v[160:161], v[160:161], 2.0, -v[164:165]
	v_fma_f64 v[162:163], v[162:163], 2.0, -v[166:167]
	;; [unrolled: 1-line block ×6, first 2 shown]
	v_add_f64 v[64:65], v[68:69], -v[172:173]
	v_add_f64 v[66:67], v[70:71], -v[174:175]
	v_fma_f64 v[68:69], v[68:69], 2.0, -v[64:65]
	v_fma_f64 v[70:71], v[70:71], 2.0, -v[66:67]
	ds_write_b128 v239, v[52:55]
	ds_write_b128 v239, v[48:51] offset:256
	ds_write_b128 v255, v[60:63]
	ds_write_b128 v255, v[56:59] offset:256
	;; [unrolled: 2-line block ×3, first 2 shown]
	buffer_load_dword v48, off, s[28:31], 0 offset:96 ; 4-byte Folded Reload
	s_waitcnt vmcnt(0)
	ds_write_b128 v48, v[160:163]
	ds_write_b128 v48, v[164:167] offset:256
	s_waitcnt lgkmcnt(0)
	s_barrier
	buffer_gl0_inv
	ds_read_b128 v[48:51], v209 offset:3584
	ds_read_b128 v[52:55], v209 offset:7168
	;; [unrolled: 1-line block ×6, first 2 shown]
	s_waitcnt lgkmcnt(5)
	v_mul_f64 v[160:161], v[82:83], v[50:51]
	v_mul_f64 v[82:83], v[82:83], v[48:49]
	s_waitcnt lgkmcnt(4)
	v_mul_f64 v[162:163], v[102:103], v[54:55]
	v_mul_f64 v[102:103], v[102:103], v[52:53]
	;; [unrolled: 3-line block ×3, first 2 shown]
	s_waitcnt lgkmcnt(2)
	v_mul_f64 v[168:169], v[94:95], v[62:63]
	v_fma_f64 v[160:161], v[80:81], v[48:49], v[160:161]
	v_fma_f64 v[166:167], v[80:81], v[50:51], -v[82:83]
	ds_read_b128 v[48:51], v209 offset:6272
	ds_read_b128 v[80:83], v209 offset:9856
	v_fma_f64 v[162:163], v[100:101], v[52:53], v[162:163]
	v_fma_f64 v[100:101], v[100:101], v[54:55], -v[102:103]
	v_mul_f64 v[52:53], v[94:95], v[60:61]
	s_waitcnt lgkmcnt(2)
	v_mul_f64 v[54:55], v[90:91], v[70:71]
	v_mul_f64 v[90:91], v[90:91], v[68:69]
	;; [unrolled: 1-line block ×3, first 2 shown]
	v_fma_f64 v[102:103], v[96:97], v[56:57], v[164:165]
	v_mul_f64 v[56:57], v[86:87], v[64:65]
	v_fma_f64 v[96:97], v[96:97], v[58:59], -v[98:99]
	v_fma_f64 v[98:99], v[92:93], v[60:61], v[168:169]
	s_waitcnt lgkmcnt(1)
	v_mul_f64 v[58:59], v[78:79], v[50:51]
	s_waitcnt lgkmcnt(0)
	v_mul_f64 v[86:87], v[74:75], v[82:83]
	v_mul_f64 v[78:79], v[78:79], v[48:49]
	;; [unrolled: 1-line block ×3, first 2 shown]
	v_fma_f64 v[92:93], v[92:93], v[62:63], -v[52:53]
	v_fma_f64 v[68:69], v[88:89], v[68:69], v[54:55]
	v_fma_f64 v[70:71], v[88:89], v[70:71], -v[90:91]
	v_fma_f64 v[64:65], v[84:85], v[64:65], v[94:95]
	v_fma_f64 v[66:67], v[84:85], v[66:67], -v[56:57]
	v_add_f64 v[84:85], v[166:167], v[100:101]
	v_fma_f64 v[74:75], v[76:77], v[48:49], v[58:59]
	v_fma_f64 v[80:81], v[72:73], v[80:81], v[86:87]
	v_fma_f64 v[76:77], v[76:77], v[50:51], -v[78:79]
	v_add_f64 v[78:79], v[160:161], v[162:163]
	v_fma_f64 v[82:83], v[72:73], v[82:83], -v[60:61]
	ds_read_b128 v[52:55], v209
	ds_read_b128 v[56:59], v209 offset:896
	v_add_f64 v[86:87], v[96:97], v[92:93]
	ds_read_b128 v[48:51], v209 offset:1792
	ds_read_b128 v[60:63], v209 offset:2688
	v_add_f64 v[72:73], v[102:103], v[98:99]
	v_add_f64 v[88:89], v[68:69], v[64:65]
	s_waitcnt lgkmcnt(0)
	v_add_f64 v[90:91], v[70:71], v[66:67]
	s_barrier
	buffer_gl0_inv
	v_add_f64 v[164:165], v[74:75], v[80:81]
	v_add_f64 v[94:95], v[52:53], v[160:161]
	v_fma_f64 v[174:175], v[78:79], -0.5, v[52:53]
	v_add_f64 v[52:53], v[76:77], v[82:83]
	v_add_f64 v[168:169], v[54:55], v[166:167]
	;; [unrolled: 1-line block ×3, first 2 shown]
	v_fma_f64 v[177:178], v[84:85], -0.5, v[54:55]
	v_add_f64 v[54:55], v[48:49], v[68:69]
	v_fma_f64 v[58:59], v[86:87], -0.5, v[58:59]
	v_add_f64 v[78:79], v[50:51], v[70:71]
	v_add_f64 v[84:85], v[60:61], v[74:75]
	v_fma_f64 v[179:180], v[88:89], -0.5, v[48:49]
	v_fma_f64 v[181:182], v[90:91], -0.5, v[50:51]
	v_add_f64 v[48:49], v[62:63], v[76:77]
	v_add_f64 v[50:51], v[166:167], -v[100:101]
	v_add_f64 v[86:87], v[160:161], -v[162:163]
	v_add_f64 v[170:171], v[56:57], v[102:103]
	v_fma_f64 v[56:57], v[72:73], -0.5, v[56:57]
	v_add_f64 v[90:91], v[96:97], -v[92:93]
	v_add_f64 v[96:97], v[102:103], -v[98:99]
	;; [unrolled: 1-line block ×6, first 2 shown]
	v_fma_f64 v[164:165], v[164:165], -0.5, v[60:61]
	v_fma_f64 v[185:186], v[52:53], -0.5, v[62:63]
	v_add_f64 v[70:71], v[168:169], v[100:101]
	v_add_f64 v[68:69], v[94:95], v[162:163]
	;; [unrolled: 1-line block ×7, first 2 shown]
	v_fma_f64 v[80:81], v[50:51], s[0:1], v[174:175]
	v_fma_f64 v[82:83], v[86:87], s[4:5], v[177:178]
	;; [unrolled: 1-line block ×4, first 2 shown]
	v_add_f64 v[72:73], v[170:171], v[98:99]
	v_fma_f64 v[88:89], v[90:91], s[0:1], v[56:57]
	v_fma_f64 v[92:93], v[90:91], s[4:5], v[56:57]
	;; [unrolled: 1-line block ×12, first 2 shown]
	ds_write_b128 v242, v[68:71]
	ds_write_b128 v242, v[80:83] offset:512
	ds_write_b128 v242, v[84:87] offset:1024
	ds_write_b128 v240, v[72:75]
	ds_write_b128 v240, v[88:91] offset:512
	ds_write_b128 v240, v[92:95] offset:1024
	;; [unrolled: 3-line block ×4, first 2 shown]
	s_waitcnt lgkmcnt(0)
	s_barrier
	buffer_gl0_inv
	ds_read_b128 v[68:71], v209
	ds_read_b128 v[88:91], v209 offset:1536
	ds_read_b128 v[84:87], v209 offset:3072
	;; [unrolled: 1-line block ×6, first 2 shown]
	s_and_saveexec_b32 s0, vcc_lo
	s_cbranch_execz .LBB0_7
; %bb.6:
	ds_read_b128 v[48:51], v209 offset:896
	ds_read_b128 v[56:59], v209 offset:2432
	;; [unrolled: 1-line block ×7, first 2 shown]
.LBB0_7:
	s_or_b32 exec_lo, exec_lo, s0
	s_waitcnt lgkmcnt(5)
	v_mul_f64 v[96:97], v[130:131], v[90:91]
	v_mul_f64 v[98:99], v[130:131], v[88:89]
	s_waitcnt lgkmcnt(4)
	v_mul_f64 v[100:101], v[134:135], v[86:87]
	v_mul_f64 v[102:103], v[134:135], v[84:85]
	;; [unrolled: 3-line block ×3, first 2 shown]
	v_mul_f64 v[138:139], v[142:143], v[82:83]
	v_mul_f64 v[142:143], v[142:143], v[80:81]
	v_mul_f64 v[160:161], v[146:147], v[78:79]
	v_mul_f64 v[146:147], v[146:147], v[76:77]
	v_mul_f64 v[162:163], v[150:151], v[74:75]
	v_mul_f64 v[150:151], v[150:151], v[72:73]
	s_mov_b32 s6, 0x37e14327
	s_mov_b32 s14, 0xe976ee23
	;; [unrolled: 1-line block ×10, first 2 shown]
	v_fma_f64 v[88:89], v[128:129], v[88:89], v[96:97]
	v_fma_f64 v[90:91], v[128:129], v[90:91], -v[98:99]
	v_fma_f64 v[84:85], v[132:133], v[84:85], v[100:101]
	v_fma_f64 v[86:87], v[132:133], v[86:87], -v[102:103]
	;; [unrolled: 2-line block ×6, first 2 shown]
	s_mov_b32 s13, 0xbff2aaaa
	s_mov_b32 s16, 0x5476071b
	;; [unrolled: 1-line block ×10, first 2 shown]
	v_add_f64 v[96:97], v[88:89], v[92:93]
	v_add_f64 v[98:99], v[90:91], v[94:95]
	;; [unrolled: 1-line block ×4, first 2 shown]
	v_add_f64 v[80:81], v[84:85], -v[80:81]
	v_add_f64 v[82:83], v[86:87], -v[82:83]
	v_add_f64 v[84:85], v[76:77], v[72:73]
	v_add_f64 v[86:87], v[78:79], v[74:75]
	v_add_f64 v[72:73], v[72:73], -v[76:77]
	v_add_f64 v[74:75], v[74:75], -v[78:79]
	v_add_f64 v[76:77], v[88:89], -v[92:93]
	v_add_f64 v[78:79], v[90:91], -v[94:95]
	v_add_f64 v[88:89], v[100:101], v[96:97]
	v_add_f64 v[90:91], v[102:103], v[98:99]
	v_add_f64 v[92:93], v[96:97], -v[84:85]
	v_add_f64 v[94:95], v[98:99], -v[86:87]
	;; [unrolled: 1-line block ×6, first 2 shown]
	v_add_f64 v[80:81], v[72:73], v[80:81]
	v_add_f64 v[82:83], v[74:75], v[82:83]
	v_add_f64 v[72:73], v[76:77], -v[72:73]
	v_add_f64 v[74:75], v[78:79], -v[74:75]
	;; [unrolled: 1-line block ×4, first 2 shown]
	v_add_f64 v[88:89], v[84:85], v[88:89]
	v_add_f64 v[90:91], v[86:87], v[90:91]
	v_add_f64 v[84:85], v[84:85], -v[100:101]
	v_add_f64 v[86:87], v[86:87], -v[102:103]
	v_mul_f64 v[92:93], v[92:93], s[6:7]
	v_mul_f64 v[94:95], v[94:95], s[6:7]
	v_mul_f64 v[128:129], v[128:129], s[14:15]
	v_mul_f64 v[130:131], v[130:131], s[14:15]
	v_mul_f64 v[136:137], v[132:133], s[0:1]
	v_mul_f64 v[138:139], v[134:135], s[0:1]
	v_add_f64 v[76:77], v[80:81], v[76:77]
	v_add_f64 v[78:79], v[82:83], v[78:79]
	;; [unrolled: 1-line block ×4, first 2 shown]
	v_mul_f64 v[100:101], v[84:85], s[4:5]
	v_mul_f64 v[102:103], v[86:87], s[4:5]
	v_fma_f64 v[80:81], v[84:85], s[4:5], v[92:93]
	v_fma_f64 v[82:83], v[86:87], s[4:5], v[94:95]
	;; [unrolled: 1-line block ×4, first 2 shown]
	v_fma_f64 v[128:129], v[132:133], s[0:1], -v[128:129]
	v_fma_f64 v[130:131], v[134:135], s[0:1], -v[130:131]
	;; [unrolled: 1-line block ×6, first 2 shown]
	v_fma_f64 v[88:89], v[88:89], s[12:13], v[68:69]
	v_fma_f64 v[90:91], v[90:91], s[12:13], v[70:71]
	v_fma_f64 v[96:97], v[96:97], s[16:17], -v[100:101]
	v_fma_f64 v[98:99], v[98:99], s[16:17], -v[102:103]
	v_fma_f64 v[100:101], v[76:77], s[24:25], v[84:85]
	v_fma_f64 v[102:103], v[78:79], s[24:25], v[86:87]
	;; [unrolled: 1-line block ×6, first 2 shown]
	v_add_f64 v[132:133], v[80:81], v[88:89]
	v_add_f64 v[134:135], v[82:83], v[90:91]
	v_add_f64 v[92:93], v[92:93], v[88:89]
	v_add_f64 v[94:95], v[94:95], v[90:91]
	v_add_f64 v[88:89], v[96:97], v[88:89]
	v_add_f64 v[90:91], v[98:99], v[90:91]
	v_add_f64 v[72:73], v[102:103], v[132:133]
	v_add_f64 v[74:75], v[134:135], -v[100:101]
	v_add_f64 v[76:77], v[130:131], v[92:93]
	v_add_f64 v[78:79], v[94:95], -v[128:129]
	v_add_f64 v[80:81], v[88:89], -v[84:85]
	v_add_f64 v[82:83], v[86:87], v[90:91]
	v_add_f64 v[84:85], v[84:85], v[88:89]
	v_add_f64 v[86:87], v[90:91], -v[86:87]
	v_add_f64 v[88:89], v[92:93], -v[130:131]
	v_add_f64 v[90:91], v[128:129], v[94:95]
	v_add_f64 v[92:93], v[132:133], -v[102:103]
	v_add_f64 v[94:95], v[100:101], v[134:135]
	ds_write_b128 v209, v[68:71]
	ds_write_b128 v209, v[72:75] offset:1536
	ds_write_b128 v209, v[76:79] offset:3072
	;; [unrolled: 1-line block ×6, first 2 shown]
	s_and_saveexec_b32 s26, vcc_lo
	s_cbranch_execz .LBB0_9
; %bb.8:
	v_mul_f64 v[68:69], v[114:115], v[156:157]
	v_mul_f64 v[70:71], v[106:107], v[56:57]
	;; [unrolled: 1-line block ×12, first 2 shown]
	v_fma_f64 v[68:69], v[112:113], v[158:159], -v[68:69]
	v_fma_f64 v[58:59], v[104:105], v[58:59], -v[70:71]
	;; [unrolled: 1-line block ×4, first 2 shown]
	v_fma_f64 v[56:57], v[104:105], v[56:57], v[76:77]
	v_fma_f64 v[72:73], v[112:113], v[156:157], v[78:79]
	;; [unrolled: 1-line block ×6, first 2 shown]
	v_fma_f64 v[62:63], v[120:121], v[62:63], -v[88:89]
	v_fma_f64 v[66:67], v[124:125], v[66:67], -v[90:91]
	v_add_f64 v[76:77], v[58:59], v[68:69]
	v_add_f64 v[58:59], v[58:59], -v[68:69]
	v_add_f64 v[78:79], v[54:55], v[70:71]
	v_add_f64 v[54:55], v[54:55], -v[70:71]
	;; [unrolled: 2-line block ×4, first 2 shown]
	v_add_f64 v[84:85], v[64:65], -v[60:61]
	v_add_f64 v[60:61], v[60:61], v[64:65]
	v_add_f64 v[74:75], v[62:63], v[66:67]
	v_add_f64 v[62:63], v[66:67], -v[62:63]
	v_add_f64 v[64:65], v[78:79], v[76:77]
	v_add_f64 v[90:91], v[54:55], -v[58:59]
	;; [unrolled: 2-line block ×3, first 2 shown]
	v_add_f64 v[68:69], v[84:85], -v[52:53]
	v_add_f64 v[72:73], v[80:81], -v[60:61]
	;; [unrolled: 1-line block ×5, first 2 shown]
	v_add_f64 v[52:53], v[84:85], v[52:53]
	v_add_f64 v[54:55], v[62:63], v[54:55]
	v_add_f64 v[62:63], v[58:59], -v[62:63]
	v_add_f64 v[76:77], v[78:79], -v[76:77]
	;; [unrolled: 1-line block ×3, first 2 shown]
	v_add_f64 v[64:65], v[74:75], v[64:65]
	v_add_f64 v[74:75], v[74:75], -v[78:79]
	v_mul_f64 v[94:95], v[90:91], s[0:1]
	v_add_f64 v[66:67], v[60:61], v[66:67]
	v_add_f64 v[60:61], v[60:61], -v[82:83]
	v_mul_f64 v[68:69], v[68:69], s[14:15]
	v_mul_f64 v[72:73], v[72:73], s[6:7]
	;; [unrolled: 1-line block ×5, first 2 shown]
	v_add_f64 v[52:53], v[52:53], v[56:57]
	v_add_f64 v[54:55], v[54:55], v[58:59]
	;; [unrolled: 1-line block ×3, first 2 shown]
	v_mul_f64 v[78:79], v[74:75], s[4:5]
	v_add_f64 v[48:49], v[48:49], v[66:67]
	v_mul_f64 v[82:83], v[60:61], s[4:5]
	v_fma_f64 v[56:57], v[92:93], s[20:21], v[68:69]
	v_fma_f64 v[60:61], v[60:61], s[4:5], v[72:73]
	;; [unrolled: 1-line block ×3, first 2 shown]
	v_fma_f64 v[74:75], v[92:93], s[22:23], -v[84:85]
	v_fma_f64 v[68:69], v[86:87], s[0:1], -v[68:69]
	;; [unrolled: 1-line block ×5, first 2 shown]
	v_fma_f64 v[64:65], v[64:65], s[12:13], v[50:51]
	v_fma_f64 v[76:77], v[76:77], s[16:17], -v[78:79]
	v_fma_f64 v[78:79], v[62:63], s[20:21], v[88:89]
	v_fma_f64 v[62:63], v[62:63], s[22:23], -v[94:95]
	v_fma_f64 v[66:67], v[66:67], s[12:13], v[48:49]
	v_fma_f64 v[80:81], v[80:81], s[16:17], -v[82:83]
	v_fma_f64 v[56:57], v[52:53], s[24:25], v[56:57]
	v_fma_f64 v[74:75], v[52:53], s[24:25], v[74:75]
	;; [unrolled: 1-line block ×4, first 2 shown]
	v_add_f64 v[68:69], v[58:59], v[64:65]
	v_add_f64 v[70:71], v[70:71], v[64:65]
	;; [unrolled: 1-line block ×3, first 2 shown]
	v_fma_f64 v[76:77], v[54:55], s[24:25], v[78:79]
	v_add_f64 v[84:85], v[60:61], v[66:67]
	v_fma_f64 v[78:79], v[54:55], s[24:25], v[62:63]
	v_add_f64 v[86:87], v[72:73], v[66:67]
	v_add_f64 v[60:61], v[80:81], v[66:67]
	;; [unrolled: 1-line block ×4, first 2 shown]
	v_add_f64 v[70:71], v[70:71], -v[74:75]
	v_add_f64 v[74:75], v[68:69], -v[56:57]
	v_add_f64 v[72:73], v[76:77], v[84:85]
	v_add_f64 v[62:63], v[64:65], -v[52:53]
	v_add_f64 v[68:69], v[78:79], v[86:87]
	v_add_f64 v[66:67], v[52:53], v[64:65]
	v_add_f64 v[64:65], v[60:61], -v[82:83]
	v_add_f64 v[60:61], v[82:83], v[60:61]
	v_add_f64 v[56:57], v[86:87], -v[78:79]
	v_add_f64 v[52:53], v[84:85], -v[76:77]
	ds_write_b128 v209, v[48:51] offset:896
	ds_write_b128 v209, v[72:75] offset:2432
	;; [unrolled: 1-line block ×7, first 2 shown]
.LBB0_9:
	s_or_b32 exec_lo, exec_lo, s26
	s_waitcnt lgkmcnt(0)
	s_barrier
	buffer_gl0_inv
	ds_read_b128 v[48:51], v209
	ds_read_b128 v[52:55], v209 offset:5376
	ds_read_b128 v[56:59], v209 offset:896
	;; [unrolled: 1-line block ×3, first 2 shown]
	v_mad_u64_u32 v[72:73], null, s10, v176, 0
	v_mad_u64_u32 v[74:75], null, s8, v210, 0
	ds_read_b128 v[60:63], v209 offset:6272
	s_mov_b32 s0, 0x18618618
	s_mov_b32 s1, 0x3f586186
	s_mul_i32 s6, s9, 0x1500
	v_mov_b32_e32 v68, v73
	s_mul_hi_u32 s7, s8, 0x1500
	v_mov_b32_e32 v73, v75
	s_mul_i32 s4, s8, 0x1500
	s_add_i32 s7, s7, s6
	v_mad_u64_u32 v[80:81], null, s11, v176, v[68:69]
	ds_read_b128 v[68:71], v209 offset:2688
	s_waitcnt lgkmcnt(5)
	v_mul_f64 v[76:77], v[26:27], v[50:51]
	v_mul_f64 v[26:27], v[26:27], v[48:49]
	s_waitcnt lgkmcnt(4)
	v_mul_f64 v[78:79], v[46:47], v[54:55]
	v_mul_f64 v[46:47], v[46:47], v[52:53]
	v_mad_u64_u32 v[81:82], null, s9, v210, v[73:74]
	s_waitcnt lgkmcnt(3)
	v_mul_f64 v[82:83], v[6:7], v[58:59]
	v_mul_f64 v[6:7], v[6:7], v[56:57]
	v_mov_b32_e32 v73, v80
	s_waitcnt lgkmcnt(1)
	v_mul_f64 v[84:85], v[42:43], v[62:63]
	v_mul_f64 v[86:87], v[42:43], v[60:61]
	s_mul_hi_u32 s12, s8, 0xffffee80
	v_mov_b32_e32 v75, v81
	s_mul_i32 s10, s9, 0xffffee80
	s_mul_i32 s5, s8, 0xffffee80
	s_sub_i32 s11, s12, s8
	s_add_i32 s11, s11, s10
	v_fma_f64 v[48:49], v[24:25], v[48:49], v[76:77]
	v_fma_f64 v[50:51], v[24:25], v[50:51], -v[26:27]
	v_fma_f64 v[52:53], v[44:45], v[52:53], v[78:79]
	v_fma_f64 v[54:55], v[44:45], v[54:55], -v[46:47]
	v_mul_f64 v[76:77], v[2:3], v[66:67]
	v_mul_f64 v[78:79], v[2:3], v[64:65]
	v_lshlrev_b64 v[2:3], 4, v[72:73]
	v_fma_f64 v[56:57], v[4:5], v[56:57], v[82:83]
	v_fma_f64 v[6:7], v[4:5], v[58:59], -v[6:7]
	v_lshlrev_b64 v[72:73], 4, v[74:75]
	v_fma_f64 v[58:59], v[40:41], v[60:61], v[84:85]
	v_fma_f64 v[40:41], v[40:41], v[62:63], -v[86:87]
	v_add_co_u32 v88, vcc_lo, s2, v2
	v_add_co_ci_u32_e32 v89, vcc_lo, s3, v3, vcc_lo
	ds_read_b128 v[24:27], v209 offset:7168
	ds_read_b128 v[42:45], v209 offset:8064
	v_add_co_u32 v60, vcc_lo, v88, v72
	v_add_co_ci_u32_e32 v61, vcc_lo, v89, v73, vcc_lo
	v_mul_f64 v[2:3], v[48:49], s[0:1]
	v_mul_f64 v[4:5], v[50:51], s[0:1]
	;; [unrolled: 1-line block ×4, first 2 shown]
	v_fma_f64 v[62:63], v[0:1], v[64:65], v[76:77]
	v_fma_f64 v[64:65], v[0:1], v[66:67], -v[78:79]
	v_add_co_u32 v0, vcc_lo, v60, s4
	v_add_co_ci_u32_e32 v1, vcc_lo, s7, v61, vcc_lo
	v_mul_f64 v[52:53], v[6:7], s[0:1]
	v_add_co_u32 v72, vcc_lo, v0, s5
	s_waitcnt lgkmcnt(1)
	v_mul_f64 v[66:67], v[30:31], v[26:27]
	v_mul_f64 v[30:31], v[30:31], v[24:25]
	v_add_co_ci_u32_e32 v73, vcc_lo, s11, v1, vcc_lo
	v_mul_f64 v[54:55], v[58:59], s[0:1]
	v_mul_f64 v[50:51], v[56:57], s[0:1]
	global_store_dwordx4 v[60:61], v[2:5], off
	global_store_dwordx4 v[0:1], v[46:49], off
	buffer_load_dword v80, off, s[28:31], 0 ; 4-byte Folded Reload
	ds_read_b128 v[4:7], v209 offset:3584
	v_mul_f64 v[0:1], v[62:63], s[0:1]
	v_mul_f64 v[2:3], v[64:65], s[0:1]
	ds_read_b128 v[46:49], v209 offset:8960
	ds_read_b128 v[58:61], v209 offset:4480
	ds_read_b128 v[62:65], v209 offset:9856
	v_mul_f64 v[78:79], v[18:19], v[70:71]
	v_mul_f64 v[18:19], v[18:19], v[68:69]
	;; [unrolled: 1-line block ×3, first 2 shown]
	v_add_co_u32 v40, vcc_lo, v72, s4
	v_fma_f64 v[24:25], v[28:29], v[24:25], v[66:67]
	v_fma_f64 v[26:27], v[28:29], v[26:27], -v[30:31]
	s_waitcnt lgkmcnt(4)
	v_mul_f64 v[28:29], v[22:23], v[44:45]
	v_mul_f64 v[22:23], v[22:23], v[42:43]
	v_add_co_ci_u32_e32 v41, vcc_lo, s7, v73, vcc_lo
	v_add_co_u32 v76, vcc_lo, v40, s5
	v_add_co_ci_u32_e32 v77, vcc_lo, s11, v41, vcc_lo
	global_store_dwordx4 v[72:73], v[50:53], off
	global_store_dwordx4 v[40:41], v[54:57], off
	;; [unrolled: 1-line block ×3, first 2 shown]
	s_waitcnt lgkmcnt(2)
	v_mul_f64 v[82:83], v[14:15], v[48:49]
	v_mul_f64 v[14:15], v[14:15], v[46:47]
	s_waitcnt lgkmcnt(1)
	v_mul_f64 v[84:85], v[34:35], v[60:61]
	v_mul_f64 v[34:35], v[34:35], v[58:59]
	;; [unrolled: 3-line block ×3, first 2 shown]
	v_mul_f64 v[0:1], v[24:25], s[0:1]
	v_fma_f64 v[24:25], v[16:17], v[68:69], v[78:79]
	v_fma_f64 v[16:17], v[16:17], v[70:71], -v[18:19]
	v_fma_f64 v[28:29], v[20:21], v[42:43], v[28:29]
	v_fma_f64 v[19:20], v[20:21], v[44:45], -v[22:23]
	v_mul_f64 v[2:3], v[26:27], s[0:1]
	v_fma_f64 v[42:43], v[12:13], v[46:47], v[82:83]
	v_fma_f64 v[44:45], v[12:13], v[48:49], -v[14:15]
	v_fma_f64 v[46:47], v[32:33], v[58:59], v[84:85]
	v_fma_f64 v[32:33], v[32:33], v[60:61], -v[34:35]
	;; [unrolled: 2-line block ×3, first 2 shown]
	s_waitcnt vmcnt(0)
	v_mad_u64_u32 v[74:75], null, s8, v80, 0
	v_mov_b32_e32 v66, v75
	v_mad_u64_u32 v[30:31], null, s9, v80, v[66:67]
	v_mul_f64 v[80:81], v[10:11], v[6:7]
	v_mul_f64 v[10:11], v[10:11], v[4:5]
	v_mad_u64_u32 v[66:67], null, 0x380, s8, v[76:77]
	v_mov_b32_e32 v75, v30
	v_mov_b32_e32 v18, v67
	v_lshlrev_b64 v[21:22], 4, v[74:75]
	v_mad_u64_u32 v[26:27], null, 0x380, s9, v[18:19]
	v_add_co_u32 v38, vcc_lo, v88, v21
	v_add_co_ci_u32_e32 v39, vcc_lo, v89, v22, vcc_lo
	v_mul_f64 v[22:23], v[32:33], s[0:1]
	v_fma_f64 v[30:31], v[8:9], v[4:5], v[80:81]
	v_fma_f64 v[40:41], v[8:9], v[6:7], -v[10:11]
	v_mov_b32_e32 v67, v26
	v_mul_f64 v[4:5], v[24:25], s[0:1]
	v_mul_f64 v[6:7], v[16:17], s[0:1]
	;; [unrolled: 1-line block ×3, first 2 shown]
	v_add_co_u32 v28, vcc_lo, v66, s4
	v_mul_f64 v[10:11], v[19:20], s[0:1]
	v_add_co_ci_u32_e32 v29, vcc_lo, s7, v67, vcc_lo
	v_mul_f64 v[16:17], v[42:43], s[0:1]
	v_mul_f64 v[18:19], v[44:45], s[0:1]
	;; [unrolled: 1-line block ×5, first 2 shown]
	global_store_dwordx4 v[38:39], v[0:3], off
	v_mul_f64 v[12:13], v[30:31], s[0:1]
	v_mul_f64 v[14:15], v[40:41], s[0:1]
	v_add_co_u32 v30, vcc_lo, v28, s5
	v_add_co_ci_u32_e32 v31, vcc_lo, s11, v29, vcc_lo
	global_store_dwordx4 v[66:67], v[4:7], off
	v_add_co_u32 v0, vcc_lo, v30, s4
	v_add_co_ci_u32_e32 v1, vcc_lo, s7, v31, vcc_lo
	v_add_co_u32 v2, vcc_lo, v0, s5
	v_add_co_ci_u32_e32 v3, vcc_lo, s11, v1, vcc_lo
	;; [unrolled: 2-line block ×3, first 2 shown]
	global_store_dwordx4 v[28:29], v[8:11], off
	global_store_dwordx4 v[30:31], v[12:15], off
	;; [unrolled: 1-line block ×5, first 2 shown]
.LBB0_10:
	s_endpgm
	.section	.rodata,"a",@progbits
	.p2align	6, 0x0
	.amdhsa_kernel bluestein_single_fwd_len672_dim1_dp_op_CI_CI
		.amdhsa_group_segment_fixed_size 10752
		.amdhsa_private_segment_fixed_size 104
		.amdhsa_kernarg_size 104
		.amdhsa_user_sgpr_count 6
		.amdhsa_user_sgpr_private_segment_buffer 1
		.amdhsa_user_sgpr_dispatch_ptr 0
		.amdhsa_user_sgpr_queue_ptr 0
		.amdhsa_user_sgpr_kernarg_segment_ptr 1
		.amdhsa_user_sgpr_dispatch_id 0
		.amdhsa_user_sgpr_flat_scratch_init 0
		.amdhsa_user_sgpr_private_segment_size 0
		.amdhsa_wavefront_size32 1
		.amdhsa_uses_dynamic_stack 0
		.amdhsa_system_sgpr_private_segment_wavefront_offset 1
		.amdhsa_system_sgpr_workgroup_id_x 1
		.amdhsa_system_sgpr_workgroup_id_y 0
		.amdhsa_system_sgpr_workgroup_id_z 0
		.amdhsa_system_sgpr_workgroup_info 0
		.amdhsa_system_vgpr_workitem_id 0
		.amdhsa_next_free_vgpr 256
		.amdhsa_next_free_sgpr 32
		.amdhsa_reserve_vcc 1
		.amdhsa_reserve_flat_scratch 0
		.amdhsa_float_round_mode_32 0
		.amdhsa_float_round_mode_16_64 0
		.amdhsa_float_denorm_mode_32 3
		.amdhsa_float_denorm_mode_16_64 3
		.amdhsa_dx10_clamp 1
		.amdhsa_ieee_mode 1
		.amdhsa_fp16_overflow 0
		.amdhsa_workgroup_processor_mode 1
		.amdhsa_memory_ordered 1
		.amdhsa_forward_progress 0
		.amdhsa_shared_vgpr_count 0
		.amdhsa_exception_fp_ieee_invalid_op 0
		.amdhsa_exception_fp_denorm_src 0
		.amdhsa_exception_fp_ieee_div_zero 0
		.amdhsa_exception_fp_ieee_overflow 0
		.amdhsa_exception_fp_ieee_underflow 0
		.amdhsa_exception_fp_ieee_inexact 0
		.amdhsa_exception_int_div_zero 0
	.end_amdhsa_kernel
	.text
.Lfunc_end0:
	.size	bluestein_single_fwd_len672_dim1_dp_op_CI_CI, .Lfunc_end0-bluestein_single_fwd_len672_dim1_dp_op_CI_CI
                                        ; -- End function
	.section	.AMDGPU.csdata,"",@progbits
; Kernel info:
; codeLenInByte = 16932
; NumSgprs: 34
; NumVgprs: 256
; ScratchSize: 104
; MemoryBound: 0
; FloatMode: 240
; IeeeMode: 1
; LDSByteSize: 10752 bytes/workgroup (compile time only)
; SGPRBlocks: 4
; VGPRBlocks: 31
; NumSGPRsForWavesPerEU: 34
; NumVGPRsForWavesPerEU: 256
; Occupancy: 4
; WaveLimiterHint : 1
; COMPUTE_PGM_RSRC2:SCRATCH_EN: 1
; COMPUTE_PGM_RSRC2:USER_SGPR: 6
; COMPUTE_PGM_RSRC2:TRAP_HANDLER: 0
; COMPUTE_PGM_RSRC2:TGID_X_EN: 1
; COMPUTE_PGM_RSRC2:TGID_Y_EN: 0
; COMPUTE_PGM_RSRC2:TGID_Z_EN: 0
; COMPUTE_PGM_RSRC2:TIDIG_COMP_CNT: 0
	.text
	.p2alignl 6, 3214868480
	.fill 48, 4, 3214868480
	.type	__hip_cuid_368aa1d3486ccee4,@object ; @__hip_cuid_368aa1d3486ccee4
	.section	.bss,"aw",@nobits
	.globl	__hip_cuid_368aa1d3486ccee4
__hip_cuid_368aa1d3486ccee4:
	.byte	0                               ; 0x0
	.size	__hip_cuid_368aa1d3486ccee4, 1

	.ident	"AMD clang version 19.0.0git (https://github.com/RadeonOpenCompute/llvm-project roc-6.4.0 25133 c7fe45cf4b819c5991fe208aaa96edf142730f1d)"
	.section	".note.GNU-stack","",@progbits
	.addrsig
	.addrsig_sym __hip_cuid_368aa1d3486ccee4
	.amdgpu_metadata
---
amdhsa.kernels:
  - .args:
      - .actual_access:  read_only
        .address_space:  global
        .offset:         0
        .size:           8
        .value_kind:     global_buffer
      - .actual_access:  read_only
        .address_space:  global
        .offset:         8
        .size:           8
        .value_kind:     global_buffer
      - .actual_access:  read_only
        .address_space:  global
        .offset:         16
        .size:           8
        .value_kind:     global_buffer
      - .actual_access:  read_only
        .address_space:  global
        .offset:         24
        .size:           8
        .value_kind:     global_buffer
      - .actual_access:  read_only
        .address_space:  global
        .offset:         32
        .size:           8
        .value_kind:     global_buffer
      - .offset:         40
        .size:           8
        .value_kind:     by_value
      - .address_space:  global
        .offset:         48
        .size:           8
        .value_kind:     global_buffer
      - .address_space:  global
        .offset:         56
        .size:           8
        .value_kind:     global_buffer
      - .address_space:  global
        .offset:         64
        .size:           8
        .value_kind:     global_buffer
      - .address_space:  global
        .offset:         72
        .size:           8
        .value_kind:     global_buffer
      - .offset:         80
        .size:           4
        .value_kind:     by_value
      - .address_space:  global
        .offset:         88
        .size:           8
        .value_kind:     global_buffer
      - .address_space:  global
        .offset:         96
        .size:           8
        .value_kind:     global_buffer
    .group_segment_fixed_size: 10752
    .kernarg_segment_align: 8
    .kernarg_segment_size: 104
    .language:       OpenCL C
    .language_version:
      - 2
      - 0
    .max_flat_workgroup_size: 56
    .name:           bluestein_single_fwd_len672_dim1_dp_op_CI_CI
    .private_segment_fixed_size: 104
    .sgpr_count:     34
    .sgpr_spill_count: 0
    .symbol:         bluestein_single_fwd_len672_dim1_dp_op_CI_CI.kd
    .uniform_work_group_size: 1
    .uses_dynamic_stack: false
    .vgpr_count:     256
    .vgpr_spill_count: 25
    .wavefront_size: 32
    .workgroup_processor_mode: 1
amdhsa.target:   amdgcn-amd-amdhsa--gfx1030
amdhsa.version:
  - 1
  - 2
...

	.end_amdgpu_metadata
